;; amdgpu-corpus repo=ROCm/rocFFT kind=compiled arch=gfx1201 opt=O3
	.text
	.amdgcn_target "amdgcn-amd-amdhsa--gfx1201"
	.amdhsa_code_object_version 6
	.protected	bluestein_single_back_len1458_dim1_half_op_CI_CI ; -- Begin function bluestein_single_back_len1458_dim1_half_op_CI_CI
	.globl	bluestein_single_back_len1458_dim1_half_op_CI_CI
	.p2align	8
	.type	bluestein_single_back_len1458_dim1_half_op_CI_CI,@function
bluestein_single_back_len1458_dim1_half_op_CI_CI: ; @bluestein_single_back_len1458_dim1_half_op_CI_CI
; %bb.0:
	s_load_b128 s[16:19], s[0:1], 0x28
	v_mul_u32_u24_e32 v1, 0x10e, v0
	s_mov_b32 s2, exec_lo
	v_mov_b32_e32 v2, 0
	s_delay_alu instid0(VALU_DEP_2) | instskip(NEXT) | instid1(VALU_DEP_1)
	v_lshrrev_b32_e32 v3, 16, v1
	v_add_nc_u32_e32 v1, ttmp9, v3
	s_wait_kmcnt 0x0
	s_delay_alu instid0(VALU_DEP_1)
	v_cmpx_gt_u64_e64 s[16:17], v[1:2]
	s_cbranch_execz .LBB0_2
; %bb.1:
	s_clause 0x1
	s_load_b128 s[4:7], s[0:1], 0x18
	s_load_b128 s[8:11], s[0:1], 0x0
	v_mul_lo_u16 v2, 0xf3, v3
	s_delay_alu instid0(VALU_DEP_1)
	v_sub_nc_u16 v14, v0, v2
	s_wait_kmcnt 0x0
	s_load_b128 s[12:15], s[4:5], 0x0
	s_wait_kmcnt 0x0
	v_mad_co_u64_u32 v[2:3], null, s14, v1, 0
	v_and_b32_e32 v27, 0xffff, v14
	s_mul_u64 s[2:3], s[12:13], 0x3cc
	s_delay_alu instid0(VALU_DEP_2) | instskip(NEXT) | instid1(VALU_DEP_2)
	v_mov_b32_e32 v0, v3
	v_mad_co_u64_u32 v[4:5], null, s12, v27, 0
	v_lshlrev_b32_e32 v35, 2, v27
	v_add_co_u32 v15, null, 0xf3, v27
	s_delay_alu instid0(VALU_DEP_2)
	v_dual_mov_b32 v3, v5 :: v_dual_add_nc_u32 v36, 0x780, v35
	v_mad_co_u64_u32 v[5:6], null, s15, v1, v[0:1]
	s_clause 0x5
	global_load_b32 v0, v35, s[8:9]
	global_load_b32 v22, v35, s[8:9] offset:972
	global_load_b32 v23, v35, s[8:9] offset:1944
	global_load_b32 v24, v35, s[8:9] offset:2916
	global_load_b32 v25, v35, s[8:9] offset:3888
	global_load_b32 v26, v35, s[8:9] offset:4860
	v_add_nc_u32_e32 v34, 0xf00, v35
	v_mad_co_u64_u32 v[6:7], null, s13, v27, v[3:4]
	v_dual_mov_b32 v3, v5 :: v_dual_and_b32 v16, 0xffff, v15
	s_delay_alu instid0(VALU_DEP_2) | instskip(NEXT) | instid1(VALU_DEP_2)
	v_mov_b32_e32 v5, v6
	v_lshlrev_b64_e32 v[2:3], 2, v[2:3]
	s_delay_alu instid0(VALU_DEP_2) | instskip(NEXT) | instid1(VALU_DEP_2)
	v_lshlrev_b64_e32 v[4:5], 2, v[4:5]
	v_add_co_u32 v2, vcc_lo, s18, v2
	s_delay_alu instid0(VALU_DEP_3) | instskip(NEXT) | instid1(VALU_DEP_2)
	v_add_co_ci_u32_e32 v3, vcc_lo, s19, v3, vcc_lo
	v_add_co_u32 v2, vcc_lo, v2, v4
	s_wait_alu 0xfffd
	s_delay_alu instid0(VALU_DEP_2) | instskip(NEXT) | instid1(VALU_DEP_2)
	v_add_co_ci_u32_e32 v3, vcc_lo, v3, v5, vcc_lo
	v_add_co_u32 v4, vcc_lo, v2, s2
	s_wait_alu 0xfffd
	s_delay_alu instid0(VALU_DEP_2)
	v_add_co_ci_u32_e32 v5, vcc_lo, s3, v3, vcc_lo
	s_clause 0x1
	global_load_b32 v6, v[2:3], off
	global_load_b32 v7, v[4:5], off
	v_add_co_u32 v2, vcc_lo, v4, s2
	s_wait_alu 0xfffd
	v_add_co_ci_u32_e32 v3, vcc_lo, s3, v5, vcc_lo
	s_delay_alu instid0(VALU_DEP_2) | instskip(SKIP_1) | instid1(VALU_DEP_2)
	v_add_co_u32 v4, vcc_lo, v2, s2
	s_wait_alu 0xfffd
	v_add_co_ci_u32_e32 v5, vcc_lo, s3, v3, vcc_lo
	s_clause 0x1
	global_load_b32 v8, v[2:3], off
	global_load_b32 v9, v[4:5], off
	v_add_co_u32 v2, vcc_lo, v4, s2
	s_wait_alu 0xfffd
	v_add_co_ci_u32_e32 v3, vcc_lo, s3, v5, vcc_lo
	s_delay_alu instid0(VALU_DEP_2) | instskip(SKIP_1) | instid1(VALU_DEP_2)
	v_add_co_u32 v4, vcc_lo, v2, s2
	s_wait_alu 0xfffd
	v_add_co_ci_u32_e32 v5, vcc_lo, s3, v3, vcc_lo
	global_load_b32 v2, v[2:3], off
	global_load_b32 v3, v[4:5], off
	v_cmp_gt_u16_e32 vcc_lo, 0xa2, v14
	v_and_b32_e32 v17, 0xff, v14
	s_load_b128 s[4:7], s[6:7], 0x0
	s_delay_alu instid0(VALU_DEP_1)
	v_mul_lo_u16 v10, 0xab, v17
	s_wait_loadcnt 0xb
	v_lshrrev_b32_e32 v33, 16, v0
	s_wait_loadcnt 0xa
	v_lshrrev_b32_e32 v32, 16, v22
	s_wait_loadcnt 0x9
	v_lshrrev_b32_e32 v30, 16, v23
	s_wait_loadcnt 0x8
	v_lshrrev_b32_e32 v31, 16, v24
	s_wait_loadcnt 0x7
	v_lshrrev_b32_e32 v28, 16, v25
	s_wait_loadcnt 0x6
	v_lshrrev_b32_e32 v29, 16, v26
	s_wait_loadcnt 0x5
	v_lshrrev_b32_e32 v4, 16, v6
	v_mul_f16_e32 v5, v33, v6
	s_wait_loadcnt 0x4
	v_lshrrev_b32_e32 v12, 16, v7
	v_mul_f16_e32 v13, v32, v7
	v_mul_f16_e32 v11, v33, v4
	v_fma_f16 v4, v0, v4, -v5
	s_delay_alu instid0(VALU_DEP_2)
	v_fmac_f16_e32 v11, v0, v6
	v_mul_f16_e32 v6, v32, v12
	v_fma_f16 v12, v22, v12, -v13
	s_wait_loadcnt 0x3
	v_lshrrev_b32_e32 v5, 16, v8
	v_mul_f16_e32 v13, v30, v8
	v_pack_b32_f16 v4, v11, v4
	v_fmac_f16_e32 v6, v22, v7
	s_wait_loadcnt 0x2
	v_lshrrev_b32_e32 v7, 16, v9
	v_mul_f16_e32 v11, v30, v5
	v_fma_f16 v5, v23, v5, -v13
	v_mul_f16_e32 v13, v31, v9
	s_delay_alu instid0(VALU_DEP_4) | instskip(NEXT) | instid1(VALU_DEP_4)
	v_mul_f16_e32 v18, v31, v7
	v_fmac_f16_e32 v11, v23, v8
	s_delay_alu instid0(VALU_DEP_3)
	v_fma_f16 v7, v24, v7, -v13
	s_wait_loadcnt 0x1
	v_lshrrev_b32_e32 v8, 16, v2
	s_wait_loadcnt 0x0
	v_lshrrev_b32_e32 v19, 16, v3
	v_mul_f16_e32 v13, v28, v2
	v_mul_f16_e32 v21, v29, v3
	v_fmac_f16_e32 v18, v24, v9
	v_mul_f16_e32 v20, v28, v8
	v_mul_f16_e32 v37, v29, v19
	v_fma_f16 v8, v25, v8, -v13
	v_pack_b32_f16 v5, v11, v5
	v_lshrrev_b16 v9, 10, v10
	v_fmac_f16_e32 v20, v25, v2
	v_fma_f16 v2, v26, v19, -v21
	v_fmac_f16_e32 v37, v26, v3
	v_pack_b32_f16 v3, v6, v12
	v_pack_b32_f16 v6, v18, v7
	;; [unrolled: 1-line block ×3, first 2 shown]
	v_mul_lo_u16 v11, v9, 6
	v_pack_b32_f16 v2, v37, v2
	ds_store_2addr_b32 v35, v4, v3 offset1:243
	ds_store_2addr_b32 v36, v5, v6 offset0:6 offset1:249
	ds_store_2addr_b32 v34, v7, v2 offset0:12 offset1:255
	global_wb scope:SCOPE_SE
	s_wait_dscnt 0x0
	s_wait_kmcnt 0x0
	s_barrier_signal -1
	s_barrier_wait -1
	global_inv scope:SCOPE_SE
	ds_load_2addr_b32 v[2:3], v36 offset0:6 offset1:249
	ds_load_2addr_b32 v[4:5], v34 offset0:12 offset1:255
	ds_load_2addr_b32 v[6:7], v35 offset1:243
	v_sub_nc_u16 v11, v14, v11
	v_mul_u32_u24_e32 v8, 0xaaab, v16
	v_mul_lo_u16 v12, v14, 6
	global_wb scope:SCOPE_SE
	s_wait_dscnt 0x0
	s_barrier_signal -1
	v_and_b32_e32 v18, 0xff, v11
	v_lshrrev_b32_e32 v8, 18, v8
	v_and_b32_e32 v12, 0xffff, v12
	s_barrier_wait -1
	global_inv scope:SCOPE_SE
	v_mul_lo_u16 v10, v8, 6
	v_lshlrev_b32_e32 v37, 2, v12
	v_lshlrev_b32_e32 v12, 3, v18
	s_delay_alu instid0(VALU_DEP_3)
	v_sub_nc_u16 v10, v15, v10
	v_pk_add_f16 v11, v3, v5
	v_pk_add_f16 v19, v3, v5 neg_lo:[0,1] neg_hi:[0,1]
	v_pk_add_f16 v3, v7, v3
	v_pk_add_f16 v20, v6, v2
	v_lshlrev_b16 v13, 1, v10
	v_pk_fma_f16 v11, v11, 0.5, v7 op_sel_hi:[1,0,1] neg_lo:[1,0,0] neg_hi:[1,0,0]
	v_pk_add_f16 v7, v2, v4
	v_pk_add_f16 v2, v2, v4 neg_lo:[0,1] neg_hi:[0,1]
	v_pk_add_f16 v3, v3, v5
	v_pk_add_f16 v4, v20, v4
	v_pk_fma_f16 v21, 0x3aee, v19, v11 op_sel:[0,0,1] op_sel_hi:[0,1,0]
	v_pk_fma_f16 v11, 0x3aee, v19, v11 op_sel:[0,0,1] op_sel_hi:[0,1,0] neg_lo:[0,1,0] neg_hi:[0,1,0]
	v_pk_fma_f16 v5, v7, 0.5, v6 op_sel_hi:[1,0,1] neg_lo:[1,0,0] neg_hi:[1,0,0]
	v_pk_mul_f16 v19, 0x3aee, v2 op_sel_hi:[0,1]
	v_and_b32_e32 v13, 0xffff, v13
	v_lshrrev_b32_e32 v7, 16, v21
	v_bfi_b32 v6, 0xffff, v21, v11
	v_mul_f16_e32 v39, 0x3aee, v11
	v_pk_add_f16 v38, v5, v19 op_sel:[0,1] op_sel_hi:[1,0] neg_lo:[0,1] neg_hi:[0,1]
	v_pk_add_f16 v5, v5, v19 op_sel:[0,1] op_sel_hi:[1,0]
	v_mul_f16_e32 v21, 0xbaee, v7
	v_pk_mul_f16 v20, v6, 0.5 op_sel_hi:[1,0]
	v_fmac_f16_e32 v39, 0.5, v7
	v_pk_add_f16 v2, v4, v3
	v_lshrrev_b32_e32 v7, 16, v5
	v_fmac_f16_e32 v21, 0.5, v11
	v_pk_fma_f16 v6, 0xbaee3aee, v6, v20 op_sel:[0,0,1] op_sel_hi:[1,1,0] neg_lo:[0,0,1] neg_hi:[0,0,1]
	v_lshrrev_b32_e32 v11, 16, v38
	v_bfi_b32 v40, 0xffff, v38, v5
	v_add_f16_e32 v41, v5, v39
	v_lshlrev_b32_e32 v13, 2, v13
	v_lshrrev_b32_e32 v19, 16, v6
	v_pack_b32_f16 v20, v21, v6
	v_add_f16_e32 v11, v11, v21
	s_delay_alu instid0(VALU_DEP_3) | instskip(NEXT) | instid1(VALU_DEP_3)
	v_sub_f16_e32 v7, v7, v19
	v_pk_add_f16 v19, v38, v20 op_sel:[1,0] op_sel_hi:[0,1] neg_lo:[0,1] neg_hi:[0,1]
	v_sub_f16_e32 v20, v5, v39
	v_pk_add_f16 v5, v4, v3 neg_lo:[0,1] neg_hi:[0,1]
	v_pk_add_f16 v4, v40, v6
	v_pack_b32_f16 v3, v41, v11
	v_alignbit_b32 v7, v7, v19, 16
	v_pack_b32_f16 v6, v20, v19
	ds_store_2addr_b64 v37, v[2:3], v[4:5] offset1:1
	ds_store_b64 v37, v[6:7] offset:16
	global_wb scope:SCOPE_SE
	s_wait_dscnt 0x0
	s_barrier_signal -1
	s_barrier_wait -1
	global_inv scope:SCOPE_SE
	s_clause 0x1
	global_load_b64 v[4:5], v12, s[10:11]
	global_load_b64 v[2:3], v13, s[10:11]
	v_mul_lo_u16 v6, v17, 57
	v_mul_u32_u24_e32 v7, 0xe38f, v16
	v_and_b32_e32 v12, 0xffff, v9
	v_mad_u16 v38, v8, 18, v10
	v_mul_u32_u24_e32 v16, 0x6523, v16
	v_lshrrev_b16 v19, 10, v6
	v_lshrrev_b32_e32 v20, 20, v7
	v_mul_u32_u24_e32 v12, 18, v12
	s_delay_alu instid0(VALU_DEP_3) | instskip(NEXT) | instid1(VALU_DEP_3)
	v_mul_lo_u16 v6, v19, 18
	v_mul_lo_u16 v7, v20, 18
	v_and_b32_e32 v19, 0xffff, v19
	s_delay_alu instid0(VALU_DEP_3) | instskip(NEXT) | instid1(VALU_DEP_3)
	v_sub_nc_u16 v13, v14, v6
	v_sub_nc_u16 v21, v15, v7
	ds_load_2addr_b32 v[6:7], v35 offset1:243
	ds_load_2addr_b32 v[8:9], v36 offset0:6 offset1:249
	ds_load_2addr_b32 v[10:11], v34 offset0:12 offset1:255
	global_wb scope:SCOPE_SE
	s_wait_loadcnt_dscnt 0x0
	s_barrier_signal -1
	v_and_b32_e32 v40, 0xff, v13
	v_lshlrev_b16 v39, 3, v21
	v_and_b32_e32 v13, 0xffff, v38
	v_add_lshl_u32 v38, v12, v18, 2
	s_barrier_wait -1
	v_lshlrev_b32_e32 v18, 3, v40
	v_and_b32_e32 v41, 0xffff, v39
	v_lshlrev_b32_e32 v39, 2, v13
	global_inv scope:SCOPE_SE
	v_mad_u16 v20, v20, 54, v21
	v_mul_u32_u24_e32 v19, 54, v19
	v_add_co_u32 v12, s2, s10, v41
	s_wait_alu 0xf1ff
	v_add_co_ci_u32_e64 v13, null, s11, 0, s2
	v_lshrrev_b32_e32 v48, 16, v7
	v_lshrrev_b32_e32 v46, 16, v8
	;; [unrolled: 1-line block ×6, first 2 shown]
	v_add_lshl_u32 v40, v19, v40, 2
	v_and_b32_e32 v20, 0xffff, v20
	v_lshrrev_b32_e32 v44, 16, v4
	v_lshrrev_b32_e32 v45, 16, v5
	;; [unrolled: 1-line block ×4, first 2 shown]
	s_delay_alu instid0(VALU_DEP_4)
	v_mul_f16_e32 v51, v46, v44
	v_mul_f16_e32 v52, v8, v44
	;; [unrolled: 1-line block ×8, first 2 shown]
	v_fma_f16 v8, v8, v4, -v51
	v_fmac_f16_e32 v52, v46, v4
	v_fma_f16 v10, v10, v5, -v53
	v_fmac_f16_e32 v54, v47, v5
	;; [unrolled: 2-line block ×4, first 2 shown]
	v_add_f16_e32 v47, v8, v10
	v_add_f16_e32 v51, v52, v54
	;; [unrolled: 1-line block ×4, first 2 shown]
	v_sub_f16_e32 v55, v56, v58
	v_add_f16_e32 v56, v56, v58
	v_add_f16_e32 v46, v6, v8
	v_sub_f16_e32 v49, v52, v54
	v_add_f16_e32 v50, v41, v52
	v_sub_f16_e32 v8, v8, v10
	v_add_f16_e32 v52, v7, v9
	v_fma_f16 v6, -0.5, v47, v6
	v_fmac_f16_e32 v41, -0.5, v51
	v_sub_f16_e32 v9, v9, v11
	v_fmac_f16_e32 v7, -0.5, v53
	v_fmac_f16_e32 v48, -0.5, v56
	v_add_f16_e32 v10, v46, v10
	v_add_f16_e32 v46, v50, v54
	;; [unrolled: 1-line block ×4, first 2 shown]
	v_fmamk_f16 v50, v49, 0x3aee, v6
	v_fmac_f16_e32 v6, 0xbaee, v49
	v_fmamk_f16 v49, v8, 0xbaee, v41
	v_fmac_f16_e32 v41, 0x3aee, v8
	v_fmamk_f16 v8, v55, 0x3aee, v7
	v_fmamk_f16 v51, v9, 0xbaee, v48
	v_fmac_f16_e32 v7, 0xbaee, v55
	v_fmac_f16_e32 v48, 0x3aee, v9
	v_pack_b32_f16 v9, v10, v46
	v_pack_b32_f16 v10, v11, v47
	;; [unrolled: 1-line block ×6, first 2 shown]
	ds_store_2addr_b32 v38, v9, v11 offset1:6
	ds_store_b32 v38, v6 offset:48
	ds_store_2addr_b32 v39, v10, v8 offset1:6
	ds_store_b32 v39, v7 offset:48
	global_wb scope:SCOPE_SE
	s_wait_dscnt 0x0
	s_barrier_signal -1
	s_barrier_wait -1
	global_inv scope:SCOPE_SE
	s_clause 0x1
	global_load_b64 v[6:7], v18, s[10:11] offset:48
	global_load_b64 v[8:9], v[12:13], off offset:48
	v_lshrrev_b16 v10, 1, v15
	v_mul_lo_u16 v11, v17, 19
	s_delay_alu instid0(VALU_DEP_2) | instskip(NEXT) | instid1(VALU_DEP_2)
	v_and_b32_e32 v10, 0xffff, v10
	v_lshrrev_b16 v46, 10, v11
	s_delay_alu instid0(VALU_DEP_2) | instskip(NEXT) | instid1(VALU_DEP_1)
	v_mul_u32_u24_e32 v10, 0x97b5, v10
	v_lshrrev_b32_e32 v54, 20, v10
	s_delay_alu instid0(VALU_DEP_3) | instskip(NEXT) | instid1(VALU_DEP_2)
	v_mul_lo_u16 v10, v46, 54
	v_mul_lo_u16 v11, v54, 54
	s_delay_alu instid0(VALU_DEP_2) | instskip(NEXT) | instid1(VALU_DEP_2)
	v_sub_nc_u16 v41, v14, v10
	v_sub_nc_u16 v21, v15, v11
	ds_load_2addr_b32 v[10:11], v35 offset1:243
	ds_load_2addr_b32 v[12:13], v36 offset0:6 offset1:249
	ds_load_2addr_b32 v[17:18], v34 offset0:12 offset1:255
	v_and_b32_e32 v55, 0xff, v41
	v_lshlrev_b32_e32 v41, 2, v20
	global_wb scope:SCOPE_SE
	s_wait_loadcnt_dscnt 0x0
	v_lshlrev_b16 v47, 3, v21
	s_barrier_signal -1
	v_lshlrev_b32_e32 v48, 3, v55
	s_barrier_wait -1
	global_inv scope:SCOPE_SE
	v_and_b32_e32 v47, 0xffff, v47
	v_mad_u16 v21, 0xa2, v54, v21
	s_delay_alu instid0(VALU_DEP_2)
	v_add_co_u32 v19, s2, s10, v47
	s_wait_alu 0xf1ff
	v_add_co_ci_u32_e64 v20, null, s11, 0, s2
	v_lshrrev_b32_e32 v57, 16, v11
	v_lshrrev_b32_e32 v49, 16, v12
	;; [unrolled: 1-line block ×6, first 2 shown]
	v_and_b32_e32 v21, 0xffff, v21
	v_lshrrev_b32_e32 v52, 16, v6
	v_lshrrev_b32_e32 v53, 16, v7
	;; [unrolled: 1-line block ×4, first 2 shown]
	s_delay_alu instid0(VALU_DEP_4)
	v_mul_f16_e32 v60, v49, v52
	v_mul_f16_e32 v61, v12, v52
	;; [unrolled: 1-line block ×8, first 2 shown]
	v_fma_f16 v12, v12, v6, -v60
	v_fmac_f16_e32 v61, v49, v6
	v_fma_f16 v17, v17, v7, -v62
	v_fmac_f16_e32 v63, v56, v7
	;; [unrolled: 2-line block ×4, first 2 shown]
	v_add_f16_e32 v56, v12, v17
	v_add_f16_e32 v60, v61, v63
	;; [unrolled: 1-line block ×4, first 2 shown]
	v_sub_f16_e32 v64, v65, v67
	v_add_f16_e32 v65, v65, v67
	v_add_f16_e32 v49, v10, v12
	v_sub_f16_e32 v58, v61, v63
	v_add_f16_e32 v59, v47, v61
	v_sub_f16_e32 v12, v12, v17
	v_add_f16_e32 v61, v11, v13
	v_fma_f16 v10, -0.5, v56, v10
	v_fmac_f16_e32 v47, -0.5, v60
	v_sub_f16_e32 v13, v13, v18
	v_fmac_f16_e32 v11, -0.5, v62
	v_fmac_f16_e32 v57, -0.5, v65
	v_add_f16_e32 v17, v49, v17
	v_add_f16_e32 v49, v59, v63
	;; [unrolled: 1-line block ×4, first 2 shown]
	v_fmamk_f16 v59, v58, 0x3aee, v10
	v_fmac_f16_e32 v10, 0xbaee, v58
	v_fmamk_f16 v58, v12, 0xbaee, v47
	v_fmac_f16_e32 v47, 0x3aee, v12
	v_fmamk_f16 v12, v64, 0x3aee, v11
	v_fmamk_f16 v60, v13, 0xbaee, v57
	v_fmac_f16_e32 v11, 0xbaee, v64
	v_fmac_f16_e32 v57, 0x3aee, v13
	v_pack_b32_f16 v13, v17, v49
	v_pack_b32_f16 v17, v18, v56
	;; [unrolled: 1-line block ×6, first 2 shown]
	ds_store_2addr_b32 v40, v13, v18 offset1:18
	ds_store_b32 v40, v10 offset:144
	ds_store_2addr_b32 v41, v17, v12 offset1:18
	ds_store_b32 v41, v11 offset:144
	global_wb scope:SCOPE_SE
	s_wait_dscnt 0x0
	s_barrier_signal -1
	s_barrier_wait -1
	global_inv scope:SCOPE_SE
	s_clause 0x1
	global_load_b64 v[10:11], v48, s[10:11] offset:192
	global_load_b64 v[12:13], v[19:20], off offset:192
	v_and_b32_e32 v56, 0xffff, v46
	ds_load_2addr_b32 v[19:20], v35 offset1:243
	ds_load_2addr_b32 v[46:47], v36 offset0:6 offset1:249
	ds_load_2addr_b32 v[48:49], v34 offset0:12 offset1:255
	v_lshrrev_b32_e32 v62, 22, v16
	v_add_co_u32 v16, s2, 0xffffff5e, v27
	v_mul_u32_u24_e32 v56, 0xa2, v56
	s_wait_alu 0xf1ff
	v_add_co_ci_u32_e64 v17, null, 0, -1, s2
	v_mul_lo_u16 v18, 0xa2, v62
	v_cndmask_b32_e32 v16, v16, v27, vcc_lo
	v_add_lshl_u32 v54, v56, v55, 2
	v_lshlrev_b32_e32 v55, 2, v21
	v_cndmask_b32_e64 v17, v17, 0, vcc_lo
	v_sub_nc_u16 v63, v15, v18
	global_wb scope:SCOPE_SE
	s_wait_loadcnt_dscnt 0x0
	s_barrier_signal -1
	s_barrier_wait -1
	v_lshlrev_b64_e32 v[17:18], 3, v[16:17]
	v_lshlrev_b16 v57, 3, v63
	v_lshrrev_b32_e32 v66, 16, v20
	v_lshrrev_b32_e32 v64, 16, v46
	;; [unrolled: 1-line block ×6, first 2 shown]
	v_and_b32_e32 v57, 0xffff, v57
	v_add_co_u32 v17, vcc_lo, s10, v17
	s_wait_alu 0xfffd
	v_add_co_ci_u32_e32 v18, vcc_lo, s11, v18, vcc_lo
	s_delay_alu instid0(VALU_DEP_3)
	v_add_co_u32 v56, s2, s10, v57
	s_wait_alu 0xf1ff
	v_add_co_ci_u32_e64 v57, null, s11, 0, s2
	global_inv scope:SCOPE_SE
	v_cmp_lt_u16_e32 vcc_lo, 0xa1, v14
	v_lshlrev_b32_e32 v15, 3, v15
	s_add_nc_u64 s[2:3], s[8:9], 0x16c8
	s_wait_alu 0xfffd
	v_cndmask_b32_e64 v14, 0, 0x1e6, vcc_lo
	v_lshrrev_b32_e32 v60, 16, v10
	v_lshrrev_b32_e32 v61, 16, v11
	;; [unrolled: 1-line block ×4, first 2 shown]
	s_delay_alu instid0(VALU_DEP_4)
	v_mul_f16_e32 v69, v64, v60
	v_mul_f16_e32 v70, v46, v60
	;; [unrolled: 1-line block ×8, first 2 shown]
	v_fma_f16 v46, v46, v10, -v69
	v_fmac_f16_e32 v70, v64, v10
	v_fma_f16 v48, v48, v11, -v71
	v_fmac_f16_e32 v72, v65, v11
	;; [unrolled: 2-line block ×4, first 2 shown]
	v_add_f16_e32 v65, v46, v48
	v_add_f16_e32 v69, v70, v72
	;; [unrolled: 1-line block ×4, first 2 shown]
	v_sub_f16_e32 v73, v74, v76
	v_add_f16_e32 v74, v74, v76
	v_add_f16_e32 v64, v19, v46
	v_sub_f16_e32 v67, v70, v72
	v_add_f16_e32 v68, v21, v70
	v_sub_f16_e32 v46, v46, v48
	v_add_f16_e32 v70, v20, v47
	v_fma_f16 v19, -0.5, v65, v19
	v_fmac_f16_e32 v21, -0.5, v69
	v_sub_f16_e32 v47, v47, v49
	v_fmac_f16_e32 v20, -0.5, v71
	v_fmac_f16_e32 v66, -0.5, v74
	v_add_f16_e32 v48, v64, v48
	v_add_f16_e32 v64, v68, v72
	;; [unrolled: 1-line block ×4, first 2 shown]
	v_fmamk_f16 v68, v67, 0x3aee, v19
	v_fmac_f16_e32 v19, 0xbaee, v67
	v_fmamk_f16 v67, v46, 0xbaee, v21
	v_fmac_f16_e32 v21, 0x3aee, v46
	v_fmamk_f16 v46, v73, 0x3aee, v20
	v_fmamk_f16 v69, v47, 0xbaee, v66
	v_fmac_f16_e32 v20, 0xbaee, v73
	v_fmac_f16_e32 v66, 0x3aee, v47
	v_pack_b32_f16 v47, v48, v64
	v_pack_b32_f16 v48, v49, v65
	;; [unrolled: 1-line block ×6, first 2 shown]
	ds_store_2addr_b32 v54, v47, v49 offset1:54
	ds_store_b32 v54, v19 offset:432
	ds_store_2addr_b32 v55, v48, v21 offset1:54
	ds_store_b32 v55, v20 offset:432
	global_wb scope:SCOPE_SE
	s_wait_dscnt 0x0
	s_barrier_signal -1
	s_barrier_wait -1
	global_inv scope:SCOPE_SE
	s_clause 0x1
	global_load_b64 v[18:19], v[17:18], off offset:624
	global_load_b64 v[20:21], v[56:57], off offset:624
	ds_load_2addr_b32 v[46:47], v35 offset1:243
	ds_load_2addr_b32 v[48:49], v36 offset0:6 offset1:249
	ds_load_2addr_b32 v[66:67], v34 offset0:12 offset1:255
	v_mad_u16 v17, 0x1e6, v62, v63
	v_add_lshl_u32 v57, v16, v14, 2
	v_lshlrev_b32_e32 v68, 3, v27
	global_wb scope:SCOPE_SE
	s_wait_loadcnt_dscnt 0x0
	s_barrier_signal -1
	v_and_b32_e32 v17, 0xffff, v17
	s_barrier_wait -1
	global_inv scope:SCOPE_SE
	v_lshlrev_b32_e32 v56, 2, v17
	v_lshrrev_b32_e32 v69, 16, v47
	v_lshrrev_b32_e32 v16, 16, v48
	;; [unrolled: 1-line block ×10, first 2 shown]
	s_delay_alu instid0(VALU_DEP_4)
	v_mul_f16_e32 v72, v16, v64
	v_mul_f16_e32 v73, v48, v64
	;; [unrolled: 1-line block ×8, first 2 shown]
	v_fma_f16 v48, v48, v18, -v72
	v_fmac_f16_e32 v73, v16, v18
	v_fma_f16 v16, v66, v19, -v74
	v_fmac_f16_e32 v75, v17, v19
	;; [unrolled: 2-line block ×4, first 2 shown]
	v_add_f16_e32 v67, v48, v16
	v_add_f16_e32 v72, v73, v75
	;; [unrolled: 1-line block ×4, first 2 shown]
	v_sub_f16_e32 v76, v77, v79
	v_add_f16_e32 v77, v77, v79
	v_add_f16_e32 v66, v46, v48
	v_sub_f16_e32 v70, v73, v75
	v_add_f16_e32 v71, v14, v73
	v_sub_f16_e32 v48, v48, v16
	v_add_f16_e32 v73, v47, v17
	v_fma_f16 v46, -0.5, v67, v46
	v_fmac_f16_e32 v14, -0.5, v72
	v_sub_f16_e32 v17, v17, v49
	v_fmac_f16_e32 v47, -0.5, v74
	v_fmac_f16_e32 v69, -0.5, v77
	v_add_f16_e32 v16, v66, v16
	v_add_f16_e32 v66, v71, v75
	;; [unrolled: 1-line block ×4, first 2 shown]
	v_fmamk_f16 v71, v70, 0x3aee, v46
	v_fmac_f16_e32 v46, 0xbaee, v70
	v_fmamk_f16 v70, v48, 0xbaee, v14
	v_fmac_f16_e32 v14, 0x3aee, v48
	v_fmamk_f16 v48, v76, 0x3aee, v47
	v_fmamk_f16 v72, v17, 0xbaee, v69
	v_fmac_f16_e32 v47, 0xbaee, v76
	v_fmac_f16_e32 v69, 0x3aee, v17
	v_pack_b32_f16 v16, v16, v66
	v_pack_b32_f16 v17, v49, v67
	;; [unrolled: 1-line block ×6, first 2 shown]
	ds_store_2addr_b32 v57, v16, v49 offset1:162
	ds_store_b32 v57, v14 offset:1296
	ds_store_2addr_b32 v56, v17, v46 offset1:162
	ds_store_b32 v56, v47 offset:1296
	global_wb scope:SCOPE_SE
	s_wait_dscnt 0x0
	s_barrier_signal -1
	s_barrier_wait -1
	global_inv scope:SCOPE_SE
	s_clause 0x1
	global_load_b64 v[16:17], v68, s[10:11] offset:1920
	global_load_b64 v[14:15], v15, s[10:11] offset:1920
	ds_load_2addr_b32 v[66:67], v35 offset1:243
	ds_load_2addr_b32 v[68:69], v36 offset0:6 offset1:249
	ds_load_2addr_b32 v[70:71], v34 offset0:12 offset1:255
	s_wait_dscnt 0x2
	v_lshrrev_b32_e32 v75, 16, v67
	s_wait_dscnt 0x1
	v_lshrrev_b32_e32 v73, 16, v68
	;; [unrolled: 2-line block ×3, first 2 shown]
	v_lshrrev_b32_e32 v76, 16, v69
	v_lshrrev_b32_e32 v77, 16, v71
	;; [unrolled: 1-line block ×3, first 2 shown]
	s_wait_loadcnt 0x1
	v_lshrrev_b32_e32 v48, 16, v16
	v_lshrrev_b32_e32 v49, 16, v17
	s_wait_loadcnt 0x0
	v_lshrrev_b32_e32 v47, 16, v14
	v_lshrrev_b32_e32 v46, 16, v15
	v_mul_f16_e32 v78, v73, v48
	v_mul_f16_e32 v79, v68, v48
	;; [unrolled: 1-line block ×8, first 2 shown]
	v_fma_f16 v68, v68, v16, -v78
	v_fmac_f16_e32 v79, v73, v16
	v_fma_f16 v70, v70, v17, -v80
	v_fmac_f16_e32 v81, v74, v17
	;; [unrolled: 2-line block ×4, first 2 shown]
	v_add_f16_e32 v74, v68, v70
	v_add_f16_e32 v78, v79, v81
	;; [unrolled: 1-line block ×4, first 2 shown]
	v_sub_f16_e32 v82, v83, v85
	v_add_f16_e32 v83, v83, v85
	v_add_f16_e32 v73, v66, v68
	v_sub_f16_e32 v76, v79, v81
	v_add_f16_e32 v77, v72, v79
	v_sub_f16_e32 v68, v68, v70
	v_fma_f16 v66, -0.5, v74, v66
	v_fmac_f16_e32 v72, -0.5, v78
	v_add_f16_e32 v79, v67, v69
	v_sub_f16_e32 v69, v69, v71
	v_fmac_f16_e32 v67, -0.5, v80
	v_fmac_f16_e32 v75, -0.5, v83
	v_add_f16_e32 v70, v73, v70
	v_add_f16_e32 v73, v77, v81
	v_fmamk_f16 v77, v76, 0x3aee, v66
	v_fmac_f16_e32 v66, 0xbaee, v76
	v_fmamk_f16 v76, v68, 0xbaee, v72
	v_fmac_f16_e32 v72, 0x3aee, v68
	v_add_f16_e32 v71, v79, v71
	v_add_f16_e32 v74, v84, v85
	v_fmamk_f16 v68, v82, 0x3aee, v67
	v_fmamk_f16 v78, v69, 0xbaee, v75
	v_fmac_f16_e32 v67, 0xbaee, v82
	v_fmac_f16_e32 v75, 0x3aee, v69
	v_pack_b32_f16 v69, v70, v73
	v_pack_b32_f16 v70, v77, v76
	;; [unrolled: 1-line block ×6, first 2 shown]
	ds_store_b32 v35, v70 offset:1944
	ds_store_b32 v35, v66 offset:3888
	ds_store_2addr_b32 v35, v69, v71 offset1:243
	ds_store_b32 v35, v68 offset:2916
	ds_store_b32 v35, v67 offset:4860
	global_wb scope:SCOPE_SE
	s_wait_dscnt 0x0
	s_barrier_signal -1
	s_barrier_wait -1
	global_inv scope:SCOPE_SE
	s_clause 0x5
	global_load_b32 v68, v35, s[8:9] offset:5832
	global_load_b32 v69, v35, s[2:3] offset:972
	;; [unrolled: 1-line block ×6, first 2 shown]
	ds_load_2addr_b32 v[66:67], v35 offset1:243
	s_mul_u64 s[2:3], s[4:5], 0x3cc
	s_wait_dscnt 0x0
	v_lshrrev_b32_e32 v74, 16, v66
	v_lshrrev_b32_e32 v76, 16, v67
	s_wait_loadcnt 0x5
	v_lshrrev_b32_e32 v75, 16, v68
	s_wait_loadcnt 0x4
	v_lshrrev_b32_e32 v77, 16, v69
	s_delay_alu instid0(VALU_DEP_2) | instskip(SKIP_1) | instid1(VALU_DEP_3)
	v_mul_f16_e32 v78, v74, v75
	v_mul_f16_e32 v75, v66, v75
	;; [unrolled: 1-line block ×4, first 2 shown]
	s_delay_alu instid0(VALU_DEP_4) | instskip(NEXT) | instid1(VALU_DEP_4)
	v_fma_f16 v66, v66, v68, -v78
	v_fmac_f16_e32 v75, v74, v68
	s_delay_alu instid0(VALU_DEP_4) | instskip(NEXT) | instid1(VALU_DEP_4)
	v_fma_f16 v67, v67, v69, -v79
	v_fmac_f16_e32 v77, v76, v69
	s_wait_loadcnt 0x3
	v_lshrrev_b32_e32 v74, 16, v70
	s_wait_loadcnt 0x1
	v_lshrrev_b32_e32 v76, 16, v72
	v_pack_b32_f16 v66, v66, v75
	v_lshrrev_b32_e32 v75, 16, v71
	v_pack_b32_f16 v67, v67, v77
	s_wait_loadcnt 0x0
	v_lshrrev_b32_e32 v77, 16, v73
	ds_store_2addr_b32 v35, v66, v67 offset1:243
	ds_load_2addr_b32 v[66:67], v36 offset0:6 offset1:249
	ds_load_2addr_b32 v[68:69], v34 offset0:12 offset1:255
	s_wait_dscnt 0x1
	v_lshrrev_b32_e32 v78, 16, v66
	v_lshrrev_b32_e32 v80, 16, v67
	s_wait_dscnt 0x0
	v_lshrrev_b32_e32 v82, 16, v68
	v_lshrrev_b32_e32 v84, 16, v69
	v_mul_f16_e32 v79, v66, v74
	v_mul_f16_e32 v81, v67, v75
	;; [unrolled: 1-line block ×8, first 2 shown]
	v_fmac_f16_e32 v79, v78, v70
	v_fmac_f16_e32 v81, v80, v71
	v_fma_f16 v66, v66, v70, -v74
	v_fma_f16 v67, v67, v71, -v75
	v_fmac_f16_e32 v83, v82, v72
	v_fmac_f16_e32 v85, v84, v73
	v_fma_f16 v68, v68, v72, -v76
	v_fma_f16 v69, v69, v73, -v77
	v_pack_b32_f16 v66, v66, v79
	v_pack_b32_f16 v67, v67, v81
	s_delay_alu instid0(VALU_DEP_4) | instskip(NEXT) | instid1(VALU_DEP_4)
	v_pack_b32_f16 v68, v68, v83
	v_pack_b32_f16 v69, v69, v85
	ds_store_2addr_b32 v36, v66, v67 offset0:6 offset1:249
	ds_store_2addr_b32 v34, v68, v69 offset0:12 offset1:255
	global_wb scope:SCOPE_SE
	s_wait_dscnt 0x0
	s_barrier_signal -1
	s_barrier_wait -1
	global_inv scope:SCOPE_SE
	ds_load_2addr_b32 v[66:67], v36 offset0:6 offset1:249
	ds_load_2addr_b32 v[68:69], v34 offset0:12 offset1:255
	ds_load_2addr_b32 v[70:71], v35 offset1:243
	global_wb scope:SCOPE_SE
	s_wait_dscnt 0x0
	s_barrier_signal -1
	s_barrier_wait -1
	global_inv scope:SCOPE_SE
	v_pk_add_f16 v72, v67, v69
	v_pk_add_f16 v73, v70, v66
	;; [unrolled: 1-line block ×3, first 2 shown]
	v_pk_add_f16 v67, v67, v69 neg_lo:[0,1] neg_hi:[0,1]
	v_pk_add_f16 v75, v66, v68
	v_pk_fma_f16 v71, v72, 0.5, v71 op_sel_hi:[1,0,1] neg_lo:[1,0,0] neg_hi:[1,0,0]
	v_pk_add_f16 v72, v66, v68 neg_lo:[0,1] neg_hi:[0,1]
	v_pk_add_f16 v68, v73, v68
	v_pk_add_f16 v69, v74, v69
	v_pk_fma_f16 v70, v75, 0.5, v70 op_sel_hi:[1,0,1] neg_lo:[1,0,0] neg_hi:[1,0,0]
	v_pk_fma_f16 v73, 0x3aee, v67, v71 op_sel:[0,0,1] op_sel_hi:[0,1,0] neg_lo:[0,1,0] neg_hi:[0,1,0]
	v_pk_fma_f16 v67, 0x3aee, v67, v71 op_sel:[0,0,1] op_sel_hi:[0,1,0]
	s_delay_alu instid0(VALU_DEP_4) | instskip(NEXT) | instid1(VALU_DEP_4)
	v_pk_add_f16 v66, v68, v69
	v_pk_fma_f16 v71, 0x3aee, v72, v70 op_sel:[0,0,1] op_sel_hi:[0,1,0] neg_lo:[0,1,0] neg_hi:[0,1,0]
	s_delay_alu instid0(VALU_DEP_4)
	v_pk_mul_f16 v74, 0x3aee, v73 op_sel_hi:[0,1]
	v_lshrrev_b32_e32 v75, 16, v73
	v_mul_f16_e32 v76, 0xbaee, v67
	v_lshrrev_b32_e32 v77, 16, v67
	v_mul_f16_e32 v73, -0.5, v73
	v_pk_fma_f16 v78, 0xb8003800, v67, v74 op_sel:[0,0,1] op_sel_hi:[1,1,0]
	v_pk_fma_f16 v67, 0xb8003800, v67, v74 op_sel:[0,0,1] op_sel_hi:[1,1,0] neg_lo:[0,0,1] neg_hi:[0,0,1]
	v_pk_fma_f16 v70, 0x3aee, v72, v70 op_sel:[0,0,1] op_sel_hi:[0,1,0]
	v_lshrrev_b32_e32 v72, 16, v71
	v_fmac_f16_e32 v73, 0x3aee, v77
	v_fmac_f16_e32 v76, 0.5, v75
	v_bfi_b32 v74, 0xffff, v78, v67
	v_alignbit_b32 v75, v70, v71, 16
	v_alignbit_b32 v77, v71, v70, 16
	v_add_f16_e32 v71, v71, v73
	v_add_f16_e32 v72, v72, v76
	v_pk_add_f16 v74, v70, v74
	v_pack_b32_f16 v78, v76, v78
	v_alignbit_b32 v73, v73, v67, 16
	v_pk_add_f16 v69, v68, v69 neg_lo:[0,1] neg_hi:[0,1]
	s_delay_alu instid0(VALU_DEP_4)
	v_alignbit_b32 v68, v71, v74, 16
	v_pack_b32_f16 v67, v72, v74
	v_pk_add_f16 v70, v75, v78 neg_lo:[0,1] neg_hi:[0,1]
	v_pk_add_f16 v71, v77, v73 neg_lo:[0,1] neg_hi:[0,1]
	ds_store_2addr_b64 v37, v[66:67], v[68:69] offset1:1
	ds_store_b64 v37, v[70:71] offset:16
	global_wb scope:SCOPE_SE
	s_wait_dscnt 0x0
	s_barrier_signal -1
	s_barrier_wait -1
	global_inv scope:SCOPE_SE
	ds_load_2addr_b32 v[66:67], v35 offset1:243
	ds_load_2addr_b32 v[68:69], v36 offset0:6 offset1:249
	ds_load_2addr_b32 v[70:71], v34 offset0:12 offset1:255
	global_wb scope:SCOPE_SE
	s_wait_dscnt 0x0
	s_barrier_signal -1
	s_barrier_wait -1
	global_inv scope:SCOPE_SE
	v_lshrrev_b32_e32 v37, 16, v66
	v_lshrrev_b32_e32 v72, 16, v68
	;; [unrolled: 1-line block ×5, first 2 shown]
	v_mul_f16_e32 v77, v44, v68
	v_mul_f16_e32 v78, v45, v70
	;; [unrolled: 1-line block ×8, first 2 shown]
	v_fma_f16 v72, v4, v72, -v77
	v_fma_f16 v73, v5, v73, -v78
	;; [unrolled: 1-line block ×4, first 2 shown]
	v_fmac_f16_e32 v44, v4, v68
	v_fmac_f16_e32 v45, v5, v70
	;; [unrolled: 1-line block ×4, first 2 shown]
	v_lshrrev_b32_e32 v74, 16, v67
	v_add_f16_e32 v4, v72, v73
	v_add_f16_e32 v69, v75, v76
	;; [unrolled: 1-line block ×3, first 2 shown]
	v_sub_f16_e32 v2, v72, v73
	v_add_f16_e32 v3, v37, v72
	v_add_f16_e32 v72, v43, v42
	;; [unrolled: 1-line block ×4, first 2 shown]
	v_fmac_f16_e32 v37, -0.5, v4
	v_sub_f16_e32 v4, v44, v45
	v_add_f16_e32 v44, v67, v43
	v_fmac_f16_e32 v74, -0.5, v69
	v_sub_f16_e32 v43, v43, v42
	v_fma_f16 v66, -0.5, v71, v66
	v_sub_f16_e32 v5, v75, v76
	v_fmac_f16_e32 v67, -0.5, v72
	v_add_f16_e32 v3, v3, v73
	v_add_f16_e32 v45, v70, v45
	v_fmamk_f16 v69, v4, 0x3aee, v37
	v_fmac_f16_e32 v37, 0xbaee, v4
	v_add_f16_e32 v4, v44, v42
	v_fmamk_f16 v42, v43, 0x3aee, v74
	v_fmac_f16_e32 v74, 0xbaee, v43
	v_fmamk_f16 v43, v2, 0xbaee, v66
	v_fmac_f16_e32 v66, 0x3aee, v2
	v_add_f16_e32 v68, v68, v76
	v_fmamk_f16 v2, v5, 0xbaee, v67
	v_fmac_f16_e32 v67, 0x3aee, v5
	v_pack_b32_f16 v3, v45, v3
	v_pack_b32_f16 v5, v43, v69
	;; [unrolled: 1-line block ×6, first 2 shown]
	ds_store_2addr_b32 v38, v3, v5 offset1:6
	ds_store_b32 v38, v37 offset:48
	ds_store_2addr_b32 v39, v4, v2 offset1:6
	ds_store_b32 v39, v42 offset:48
	global_wb scope:SCOPE_SE
	s_wait_dscnt 0x0
	s_barrier_signal -1
	s_barrier_wait -1
	global_inv scope:SCOPE_SE
	ds_load_2addr_b32 v[2:3], v35 offset1:243
	ds_load_2addr_b32 v[4:5], v36 offset0:6 offset1:249
	ds_load_2addr_b32 v[37:38], v34 offset0:12 offset1:255
	global_wb scope:SCOPE_SE
	s_wait_dscnt 0x0
	s_barrier_signal -1
	s_barrier_wait -1
	global_inv scope:SCOPE_SE
	v_lshrrev_b32_e32 v39, 16, v2
	v_lshrrev_b32_e32 v42, 16, v4
	;; [unrolled: 1-line block ×5, first 2 shown]
	v_mul_f16_e32 v67, v52, v4
	v_mul_f16_e32 v68, v53, v37
	;; [unrolled: 1-line block ×6, first 2 shown]
	v_fma_f16 v42, v6, v42, -v67
	v_mul_f16_e32 v51, v51, v45
	v_mul_f16_e32 v50, v50, v66
	v_fma_f16 v43, v7, v43, -v68
	v_fma_f16 v45, v8, v45, -v69
	;; [unrolled: 1-line block ×3, first 2 shown]
	v_fmac_f16_e32 v52, v6, v4
	v_fmac_f16_e32 v53, v7, v37
	;; [unrolled: 1-line block ×4, first 2 shown]
	v_add_f16_e32 v5, v39, v42
	v_lshrrev_b32_e32 v44, 16, v3
	v_add_f16_e32 v6, v42, v43
	v_add_f16_e32 v9, v45, v66
	;; [unrolled: 1-line block ×3, first 2 shown]
	v_sub_f16_e32 v4, v42, v43
	v_add_f16_e32 v5, v5, v43
	v_add_f16_e32 v43, v51, v50
	;; [unrolled: 1-line block ×4, first 2 shown]
	v_fmac_f16_e32 v39, -0.5, v6
	v_sub_f16_e32 v6, v52, v53
	v_add_f16_e32 v42, v3, v51
	v_fmac_f16_e32 v44, -0.5, v9
	v_sub_f16_e32 v9, v51, v50
	v_fma_f16 v2, -0.5, v38, v2
	v_sub_f16_e32 v7, v45, v66
	v_fmac_f16_e32 v3, -0.5, v43
	v_add_f16_e32 v37, v37, v53
	v_fmamk_f16 v38, v6, 0x3aee, v39
	v_fmac_f16_e32 v39, 0xbaee, v6
	v_add_f16_e32 v6, v42, v50
	v_fmamk_f16 v42, v9, 0x3aee, v44
	v_fmac_f16_e32 v44, 0xbaee, v9
	v_fmamk_f16 v9, v4, 0xbaee, v2
	v_fmac_f16_e32 v2, 0x3aee, v4
	v_add_f16_e32 v8, v8, v66
	v_fmamk_f16 v4, v7, 0xbaee, v3
	v_fmac_f16_e32 v3, 0x3aee, v7
	v_pack_b32_f16 v5, v37, v5
	v_pack_b32_f16 v7, v9, v38
	;; [unrolled: 1-line block ×6, first 2 shown]
	ds_store_2addr_b32 v40, v5, v7 offset1:18
	ds_store_b32 v40, v2 offset:144
	ds_store_2addr_b32 v41, v6, v4 offset1:18
	ds_store_b32 v41, v3 offset:144
	global_wb scope:SCOPE_SE
	s_wait_dscnt 0x0
	s_barrier_signal -1
	s_barrier_wait -1
	global_inv scope:SCOPE_SE
	ds_load_2addr_b32 v[2:3], v35 offset1:243
	ds_load_2addr_b32 v[4:5], v36 offset0:6 offset1:249
	ds_load_2addr_b32 v[6:7], v34 offset0:12 offset1:255
	global_wb scope:SCOPE_SE
	s_wait_dscnt 0x0
	s_barrier_signal -1
	s_barrier_wait -1
	global_inv scope:SCOPE_SE
	v_lshrrev_b32_e32 v8, 16, v2
	v_lshrrev_b32_e32 v9, 16, v4
	;; [unrolled: 1-line block ×3, first 2 shown]
	v_mul_f16_e32 v41, v60, v4
	v_lshrrev_b32_e32 v39, 16, v5
	v_lshrrev_b32_e32 v40, 16, v7
	v_mul_f16_e32 v42, v61, v6
	v_mul_f16_e32 v43, v59, v5
	;; [unrolled: 1-line block ×4, first 2 shown]
	v_fma_f16 v9, v10, v9, -v41
	v_mul_f16_e32 v41, v61, v37
	v_fma_f16 v37, v11, v37, -v42
	v_mul_f16_e32 v42, v59, v39
	;; [unrolled: 2-line block ×3, first 2 shown]
	v_fma_f16 v40, v13, v40, -v44
	v_fmac_f16_e32 v45, v10, v4
	v_fmac_f16_e32 v41, v11, v6
	;; [unrolled: 1-line block ×4, first 2 shown]
	v_add_f16_e32 v5, v8, v9
	v_lshrrev_b32_e32 v38, 16, v3
	v_add_f16_e32 v6, v9, v37
	v_add_f16_e32 v10, v39, v40
	;; [unrolled: 1-line block ×3, first 2 shown]
	v_sub_f16_e32 v4, v9, v37
	v_add_f16_e32 v5, v5, v37
	v_add_f16_e32 v37, v42, v43
	;; [unrolled: 1-line block ×4, first 2 shown]
	v_fmac_f16_e32 v8, -0.5, v6
	v_sub_f16_e32 v6, v45, v41
	v_add_f16_e32 v13, v3, v42
	v_fmac_f16_e32 v38, -0.5, v10
	v_sub_f16_e32 v10, v42, v43
	v_fma_f16 v2, -0.5, v12, v2
	v_sub_f16_e32 v7, v39, v40
	v_fmac_f16_e32 v3, -0.5, v37
	v_add_f16_e32 v11, v11, v41
	v_fmamk_f16 v12, v6, 0x3aee, v8
	v_fmac_f16_e32 v8, 0xbaee, v6
	v_add_f16_e32 v6, v13, v43
	v_fmamk_f16 v13, v10, 0x3aee, v38
	v_fmac_f16_e32 v38, 0xbaee, v10
	v_fmamk_f16 v10, v4, 0xbaee, v2
	v_fmac_f16_e32 v2, 0x3aee, v4
	v_add_f16_e32 v9, v9, v40
	v_fmamk_f16 v4, v7, 0xbaee, v3
	v_fmac_f16_e32 v3, 0x3aee, v7
	v_pack_b32_f16 v5, v11, v5
	v_pack_b32_f16 v7, v10, v12
	;; [unrolled: 1-line block ×6, first 2 shown]
	ds_store_2addr_b32 v54, v5, v7 offset1:54
	ds_store_b32 v54, v2 offset:432
	ds_store_2addr_b32 v55, v6, v4 offset1:54
	ds_store_b32 v55, v3 offset:432
	global_wb scope:SCOPE_SE
	s_wait_dscnt 0x0
	s_barrier_signal -1
	s_barrier_wait -1
	global_inv scope:SCOPE_SE
	ds_load_2addr_b32 v[2:3], v35 offset1:243
	ds_load_2addr_b32 v[4:5], v36 offset0:6 offset1:249
	ds_load_2addr_b32 v[6:7], v34 offset0:12 offset1:255
	global_wb scope:SCOPE_SE
	s_wait_dscnt 0x0
	s_barrier_signal -1
	s_barrier_wait -1
	global_inv scope:SCOPE_SE
	v_lshrrev_b32_e32 v8, 16, v2
	v_lshrrev_b32_e32 v9, 16, v4
	;; [unrolled: 1-line block ×3, first 2 shown]
	v_mul_f16_e32 v37, v64, v4
	v_lshrrev_b32_e32 v12, 16, v5
	v_lshrrev_b32_e32 v13, 16, v7
	v_mul_f16_e32 v38, v65, v6
	v_mul_f16_e32 v39, v63, v5
	;; [unrolled: 1-line block ×4, first 2 shown]
	v_fma_f16 v9, v18, v9, -v37
	v_mul_f16_e32 v37, v65, v10
	v_fma_f16 v10, v19, v10, -v38
	v_mul_f16_e32 v38, v63, v12
	;; [unrolled: 2-line block ×3, first 2 shown]
	v_lshrrev_b32_e32 v11, 16, v3
	v_fma_f16 v13, v21, v13, -v40
	v_fmac_f16_e32 v41, v18, v4
	v_fmac_f16_e32 v37, v19, v6
	;; [unrolled: 1-line block ×4, first 2 shown]
	v_sub_f16_e32 v4, v9, v10
	v_add_f16_e32 v5, v8, v9
	v_add_f16_e32 v6, v9, v10
	v_sub_f16_e32 v7, v12, v13
	v_add_f16_e32 v9, v11, v12
	v_add_f16_e32 v12, v12, v13
	v_add_f16_e32 v19, v41, v37
	v_add_f16_e32 v20, v38, v39
	v_add_f16_e32 v18, v2, v41
	v_add_f16_e32 v5, v5, v10
	v_fmac_f16_e32 v8, -0.5, v6
	v_sub_f16_e32 v6, v41, v37
	v_add_f16_e32 v10, v3, v38
	v_fmac_f16_e32 v11, -0.5, v12
	v_sub_f16_e32 v12, v38, v39
	v_fma_f16 v2, -0.5, v19, v2
	v_fmac_f16_e32 v3, -0.5, v20
	v_add_f16_e32 v9, v9, v13
	v_add_f16_e32 v13, v18, v37
	v_fmamk_f16 v18, v6, 0x3aee, v8
	v_fmac_f16_e32 v8, 0xbaee, v6
	v_add_f16_e32 v6, v10, v39
	v_fmamk_f16 v10, v12, 0x3aee, v11
	v_fmac_f16_e32 v11, 0xbaee, v12
	v_fmamk_f16 v12, v4, 0xbaee, v2
	v_fmac_f16_e32 v2, 0x3aee, v4
	;; [unrolled: 2-line block ×3, first 2 shown]
	v_pack_b32_f16 v5, v13, v5
	v_pack_b32_f16 v7, v12, v18
	v_pack_b32_f16 v2, v2, v8
	v_pack_b32_f16 v6, v6, v9
	v_pack_b32_f16 v4, v4, v10
	v_pack_b32_f16 v3, v3, v11
	ds_store_2addr_b32 v57, v5, v7 offset1:162
	ds_store_b32 v57, v2 offset:1296
	ds_store_2addr_b32 v56, v6, v4 offset1:162
	ds_store_b32 v56, v3 offset:1296
	global_wb scope:SCOPE_SE
	s_wait_dscnt 0x0
	s_barrier_signal -1
	s_barrier_wait -1
	global_inv scope:SCOPE_SE
	ds_load_2addr_b32 v[4:5], v35 offset1:243
	ds_load_2addr_b32 v[6:7], v36 offset0:6 offset1:249
	ds_load_2addr_b32 v[8:9], v34 offset0:12 offset1:255
	v_mad_co_u64_u32 v[10:11], null, s6, v1, 0
	v_mad_co_u64_u32 v[2:3], null, s4, v27, 0
	s_wait_dscnt 0x2
	v_lshrrev_b32_e32 v12, 16, v4
	s_wait_dscnt 0x1
	v_lshrrev_b32_e32 v13, 16, v6
	;; [unrolled: 2-line block ×3, first 2 shown]
	v_mul_f16_e32 v37, v48, v6
	v_lshrrev_b32_e32 v20, 16, v7
	v_lshrrev_b32_e32 v21, 16, v9
	v_mul_f16_e32 v38, v49, v8
	v_mul_f16_e32 v39, v47, v7
	;; [unrolled: 1-line block ×4, first 2 shown]
	v_fma_f16 v13, v16, v13, -v37
	v_mul_f16_e32 v37, v49, v18
	v_fma_f16 v18, v17, v18, -v38
	v_mul_f16_e32 v38, v47, v20
	;; [unrolled: 2-line block ×3, first 2 shown]
	v_fma_f16 v21, v15, v21, -v40
	v_fmac_f16_e32 v41, v16, v6
	v_fmac_f16_e32 v37, v17, v8
	;; [unrolled: 1-line block ×4, first 2 shown]
	v_add_f16_e32 v7, v12, v13
	v_lshrrev_b32_e32 v19, 16, v5
	v_add_f16_e32 v8, v13, v18
	v_add_f16_e32 v14, v20, v21
	;; [unrolled: 1-line block ×3, first 2 shown]
	v_sub_f16_e32 v6, v13, v18
	v_add_f16_e32 v7, v7, v18
	v_add_f16_e32 v18, v38, v39
	;; [unrolled: 1-line block ×4, first 2 shown]
	v_fmac_f16_e32 v12, -0.5, v8
	v_sub_f16_e32 v8, v41, v37
	v_add_f16_e32 v17, v5, v38
	v_fmac_f16_e32 v19, -0.5, v14
	v_sub_f16_e32 v14, v38, v39
	v_fma_f16 v4, -0.5, v16, v4
	v_sub_f16_e32 v9, v20, v21
	v_fmac_f16_e32 v5, -0.5, v18
	v_fmamk_f16 v16, v8, 0x3aee, v12
	v_fmac_f16_e32 v12, 0xbaee, v8
	v_add_f16_e32 v8, v17, v39
	v_fmamk_f16 v17, v14, 0x3aee, v19
	v_fmac_f16_e32 v19, 0xbaee, v14
	v_fmamk_f16 v14, v6, 0xbaee, v4
	v_fmac_f16_e32 v4, 0x3aee, v6
	v_add_f16_e32 v13, v13, v21
	v_add_f16_e32 v15, v15, v37
	v_fmamk_f16 v6, v9, 0xbaee, v5
	v_fmac_f16_e32 v5, 0x3aee, v9
	v_pack_b32_f16 v9, v14, v16
	v_pack_b32_f16 v4, v4, v12
	;; [unrolled: 1-line block ×6, first 2 shown]
	ds_store_b32 v35, v9 offset:1944
	ds_store_b32 v35, v4 offset:3888
	ds_store_2addr_b32 v35, v7, v8 offset1:243
	ds_store_b32 v35, v6 offset:2916
	ds_store_b32 v35, v5 offset:4860
	global_wb scope:SCOPE_SE
	s_wait_dscnt 0x0
	s_barrier_signal -1
	s_barrier_wait -1
	global_inv scope:SCOPE_SE
	ds_load_2addr_b32 v[7:8], v36 offset0:6 offset1:249
	v_mov_b32_e32 v6, v11
	ds_load_2addr_b32 v[4:5], v35 offset1:243
	s_wait_dscnt 0x1
	v_mad_co_u64_u32 v[11:12], null, s7, v1, v[6:7]
	ds_load_2addr_b32 v[12:13], v34 offset0:12 offset1:255
	s_wait_dscnt 0x1
	v_mad_co_u64_u32 v[14:15], null, s5, v27, v[3:4]
	v_lshrrev_b32_e32 v1, 16, v4
	v_mul_f16_e32 v6, v33, v4
	v_lshrrev_b32_e32 v27, 16, v7
	v_lshlrev_b64_e32 v[9:10], 2, v[10:11]
	v_lshrrev_b32_e32 v11, 16, v5
	v_mul_f16_e32 v15, v30, v7
	v_mov_b32_e32 v3, v14
	v_mul_f16_e32 v14, v32, v5
	v_fma_f16 v6, v0, v1, -v6
	v_lshrrev_b32_e32 v34, 16, v8
	v_mul_f16_e32 v16, v31, v8
	v_fma_f16 v19, v23, v27, -v15
	v_fma_f16 v14, v22, v11, -v14
	v_cvt_f32_f16_e32 v6, v6
	v_mul_f16_e32 v33, v33, v1
	v_mul_f16_e32 v11, v32, v11
	v_cvt_f32_f16_e32 v19, v19
	s_wait_dscnt 0x0
	v_lshrrev_b32_e32 v35, 16, v12
	v_mul_f16_e32 v17, v28, v12
	v_cvt_f32_f16_e32 v20, v14
	v_cvt_f64_f32_e32 v[14:15], v6
	v_lshrrev_b32_e32 v36, 16, v13
	v_mul_f16_e32 v18, v29, v13
	v_fma_f16 v6, v24, v34, -v16
	v_fma_f16 v1, v25, v35, -v17
	v_cvt_f64_f32_e32 v[16:17], v20
	v_fmac_f16_e32 v33, v0, v4
	v_fma_f16 v32, v26, v36, -v18
	v_cvt_f32_f16_e32 v6, v6
	v_cvt_f64_f32_e32 v[18:19], v19
	v_cvt_f32_f16_e32 v1, v1
	s_load_b64 s[6:7], s[0:1], 0x38
	v_cvt_f32_f16_e32 v4, v32
	v_cvt_f64_f32_e32 v[20:21], v6
	v_mul_f16_e32 v27, v30, v27
	v_cvt_f64_f32_e32 v[0:1], v1
	v_mul_f16_e32 v30, v31, v34
	v_fmac_f16_e32 v11, v22, v5
	v_cvt_f32_f16_e32 v6, v33
	v_cvt_f64_f32_e32 v[4:5], v4
	v_mul_f16_e32 v29, v29, v36
	v_fmac_f16_e32 v27, v23, v7
	v_mul_f16_e32 v28, v28, v35
	v_fmac_f16_e32 v30, v24, v8
	v_cvt_f32_f16_e32 v8, v11
	v_cvt_f64_f32_e32 v[6:7], v6
	v_fmac_f16_e32 v29, v26, v13
	v_cvt_f32_f16_e32 v13, v27
	s_mov_b32 s0, 0xe0bf08c7
	v_fmac_f16_e32 v28, v25, v12
	v_cvt_f64_f32_e32 v[11:12], v8
	s_mov_b32 s1, 0x3f467980
	v_cvt_f32_f16_e32 v8, v29
	v_cvt_f64_f32_e32 v[22:23], v13
	v_cvt_f32_f16_e32 v24, v30
	v_lshlrev_b64_e32 v[2:3], 2, v[2:3]
	v_cvt_f32_f16_e32 v26, v28
	v_cvt_f64_f32_e32 v[28:29], v8
	s_wait_alu 0xfffe
	v_mul_f64_e32 v[13:14], s[0:1], v[14:15]
	s_wait_kmcnt 0x0
	v_add_co_u32 v15, vcc_lo, s6, v9
	v_cvt_f64_f32_e32 v[24:25], v24
	s_wait_alu 0xfffd
	v_add_co_ci_u32_e32 v10, vcc_lo, s7, v10, vcc_lo
	v_mul_f64_e32 v[8:9], s[0:1], v[16:17]
	v_add_co_u32 v2, vcc_lo, v15, v2
	v_mul_f64_e32 v[15:16], s[0:1], v[18:19]
	v_cvt_f64_f32_e32 v[26:27], v26
	s_wait_alu 0xfffd
	v_add_co_ci_u32_e32 v3, vcc_lo, v10, v3, vcc_lo
	v_mul_f64_e32 v[17:18], s[0:1], v[20:21]
	v_add_co_u32 v19, vcc_lo, v2, s2
	v_mul_f64_e32 v[0:1], s[0:1], v[0:1]
	s_wait_alu 0xfffd
	v_add_co_ci_u32_e32 v20, vcc_lo, s3, v3, vcc_lo
	s_delay_alu instid0(VALU_DEP_3) | instskip(SKIP_2) | instid1(VALU_DEP_3)
	v_add_co_u32 v30, vcc_lo, v19, s2
	v_mul_f64_e32 v[4:5], s[0:1], v[4:5]
	s_wait_alu 0xfffd
	v_add_co_ci_u32_e32 v31, vcc_lo, s3, v20, vcc_lo
	s_delay_alu instid0(VALU_DEP_3) | instskip(SKIP_2) | instid1(VALU_DEP_3)
	v_add_co_u32 v32, vcc_lo, v30, s2
	v_mul_f64_e32 v[6:7], s[0:1], v[6:7]
	s_wait_alu 0xfffd
	v_add_co_ci_u32_e32 v33, vcc_lo, s3, v31, vcc_lo
	s_delay_alu instid0(VALU_DEP_3) | instskip(SKIP_2) | instid1(VALU_DEP_3)
	v_add_co_u32 v34, vcc_lo, v32, s2
	v_mul_f64_e32 v[10:11], s[0:1], v[11:12]
	s_wait_alu 0xfffd
	v_add_co_ci_u32_e32 v35, vcc_lo, s3, v33, vcc_lo
	s_delay_alu instid0(VALU_DEP_3) | instskip(SKIP_2) | instid1(VALU_DEP_3)
	v_add_co_u32 v36, vcc_lo, v34, s2
	v_mul_f64_e32 v[21:22], s[0:1], v[22:23]
	s_wait_alu 0xfffd
	v_add_co_ci_u32_e32 v37, vcc_lo, s3, v35, vcc_lo
	v_and_or_b32 v12, 0x1ff, v14, v13
	v_lshrrev_b32_e32 v13, 8, v14
	v_mul_f64_e32 v[23:24], s[0:1], v[24:25]
	v_and_or_b32 v8, 0x1ff, v9, v8
	s_delay_alu instid0(VALU_DEP_4)
	v_cmp_ne_u32_e32 vcc_lo, 0, v12
	v_lshrrev_b32_e32 v38, 8, v9
	v_and_or_b32 v15, 0x1ff, v16, v15
	v_mul_f64_e32 v[25:26], s[0:1], v[26:27]
	v_mul_f64_e32 v[27:28], s[0:1], v[28:29]
	s_wait_alu 0xfffd
	v_cndmask_b32_e64 v12, 0, 1, vcc_lo
	v_cmp_ne_u32_e32 vcc_lo, 0, v8
	v_and_or_b32 v17, 0x1ff, v18, v17
	v_bfe_u32 v29, v14, 20, 11
	v_and_or_b32 v0, 0x1ff, v1, v0
	v_and_or_b32 v12, 0xffe, v13, v12
	s_wait_alu 0xfffd
	v_cndmask_b32_e64 v8, 0, 1, vcc_lo
	v_cmp_ne_u32_e32 vcc_lo, 0, v15
	v_bfe_u32 v39, v9, 20, 11
	v_and_or_b32 v4, 0x1ff, v5, v4
	v_bfe_u32 v47, v5, 20, 11
	v_lshrrev_b32_e32 v40, 8, v16
	s_wait_alu 0xfffd
	v_cndmask_b32_e64 v15, 0, 1, vcc_lo
	v_cmp_ne_u32_e32 vcc_lo, 0, v17
	v_and_or_b32 v6, 0x1ff, v7, v6
	v_bfe_u32 v49, v7, 20, 11
	v_lshrrev_b32_e32 v46, 8, v5
	v_lshrrev_b32_e32 v48, 8, v7
	s_wait_alu 0xfffd
	v_cndmask_b32_e64 v17, 0, 1, vcc_lo
	v_cmp_ne_u32_e32 vcc_lo, 0, v0
	v_and_or_b32 v10, 0x1ff, v11, v10
	v_sub_nc_u32_e32 v50, 0x3f1, v29
	v_add_nc_u32_e32 v29, 0xfffffc10, v29
	v_sub_nc_u32_e32 v65, 0x3f1, v47
	s_wait_alu 0xfffd
	v_cndmask_b32_e64 v0, 0, 1, vcc_lo
	v_cmp_ne_u32_e32 vcc_lo, 0, v4
	v_and_or_b32 v21, 0x1ff, v22, v21
	v_sub_nc_u32_e32 v66, 0x3f1, v49
	v_and_or_b32 v8, 0xffe, v38, v8
	v_and_or_b32 v23, 0x1ff, v24, v23
	s_wait_alu 0xfffd
	v_cndmask_b32_e64 v4, 0, 1, vcc_lo
	v_cmp_ne_u32_e32 vcc_lo, 0, v6
	v_bfe_u32 v41, v16, 20, 11
	v_lshrrev_b32_e32 v42, 8, v18
	v_lshrrev_b32_e32 v51, 8, v11
	v_sub_nc_u32_e32 v53, 0x3f1, v39
	s_wait_alu 0xfffd
	v_cndmask_b32_e64 v6, 0, 1, vcc_lo
	v_cmp_ne_u32_e32 vcc_lo, 0, v10
	v_and_or_b32 v25, 0x1ff, v26, v25
	v_and_or_b32 v27, 0x1ff, v28, v27
	v_add_nc_u32_e32 v39, 0xfffffc10, v39
	v_and_or_b32 v15, 0xffe, v40, v15
	s_wait_alu 0xfffd
	v_cndmask_b32_e64 v10, 0, 1, vcc_lo
	v_cmp_ne_u32_e32 vcc_lo, 0, v21
	v_and_or_b32 v4, 0xffe, v46, v4
	v_med3_i32 v46, v65, 0, 13
	v_and_or_b32 v6, 0xffe, v48, v6
	v_med3_i32 v48, v66, 0, 13
	s_wait_alu 0xfffd
	v_cndmask_b32_e64 v21, 0, 1, vcc_lo
	v_cmp_ne_u32_e32 vcc_lo, 0, v23
	v_or_b32_e32 v65, 0x1000, v12
	v_lshl_or_b32 v66, v29, 12, v12
	v_bfe_u32 v43, v18, 20, 11
	v_lshrrev_b32_e32 v44, 8, v1
	s_wait_alu 0xfffd
	v_cndmask_b32_e64 v23, 0, 1, vcc_lo
	v_cmp_ne_u32_e32 vcc_lo, 0, v25
	v_lshrrev_b32_e32 v54, 8, v22
	v_sub_nc_u32_e32 v56, 0x3f1, v41
	v_add_nc_u32_e32 v41, 0xfffffc10, v41
	v_and_or_b32 v17, 0xffe, v42, v17
	s_wait_alu 0xfffd
	v_cndmask_b32_e64 v25, 0, 1, vcc_lo
	v_cmp_ne_u32_e32 vcc_lo, 0, v27
	v_and_or_b32 v10, 0xffe, v51, v10
	v_or_b32_e32 v51, 0x1000, v8
	v_lshl_or_b32 v67, v39, 12, v8
	v_bfe_u32 v45, v1, 20, 11
	s_wait_alu 0xfffd
	v_cndmask_b32_e64 v27, 0, 1, vcc_lo
	v_cmp_ne_u32_e32 vcc_lo, 0, v12
	v_lshrrev_b32_e32 v57, 8, v24
	v_sub_nc_u32_e32 v59, 0x3f1, v43
	v_add_nc_u32_e32 v43, 0xfffffc10, v43
	v_and_or_b32 v0, 0xffe, v44, v0
	s_wait_alu 0xfffd
	v_cndmask_b32_e64 v12, 0, 1, vcc_lo
	v_cmp_ne_u32_e32 vcc_lo, 0, v8
	v_and_or_b32 v21, 0xffe, v54, v21
	v_or_b32_e32 v54, 0x1000, v15
	v_lshl_or_b32 v68, v41, 12, v15
	v_lshrrev_b32_e32 v60, 8, v26
	s_wait_alu 0xfffd
	v_cndmask_b32_e64 v8, 0, 1, vcc_lo
	v_cmp_ne_u32_e32 vcc_lo, 0, v15
	v_sub_nc_u32_e32 v62, 0x3f1, v45
	v_add_nc_u32_e32 v45, 0xfffffc10, v45
	v_and_or_b32 v23, 0xffe, v57, v23
	v_or_b32_e32 v57, 0x1000, v17
	s_wait_alu 0xfffd
	v_cndmask_b32_e64 v15, 0, 1, vcc_lo
	v_cmp_ne_u32_e32 vcc_lo, 0, v17
	v_lshl_or_b32 v69, v43, 12, v17
	v_lshrrev_b32_e32 v63, 8, v28
	v_add_nc_u32_e32 v47, 0xfffffc10, v47
	v_and_or_b32 v25, 0xffe, v60, v25
	s_wait_alu 0xfffd
	v_cndmask_b32_e64 v17, 0, 1, vcc_lo
	v_cmp_ne_u32_e32 vcc_lo, 0, v0
	v_or_b32_e32 v60, 0x1000, v0
	v_lshl_or_b32 v70, v45, 12, v0
	v_bfe_u32 v52, v11, 20, 11
	v_add_nc_u32_e32 v49, 0xfffffc10, v49
	s_wait_alu 0xfffd
	v_cndmask_b32_e64 v0, 0, 1, vcc_lo
	v_cmp_ne_u32_e32 vcc_lo, 0, v4
	v_and_or_b32 v27, 0xffe, v63, v27
	v_or_b32_e32 v63, 0x1000, v4
	v_lshl_or_b32 v71, v47, 12, v4
	v_bfe_u32 v55, v22, 20, 11
	s_wait_alu 0xfffd
	v_cndmask_b32_e64 v4, 0, 1, vcc_lo
	v_cmp_ne_u32_e32 vcc_lo, 0, v6
	v_med3_i32 v13, v50, 0, 13
	v_sub_nc_u32_e32 v50, 0x3f1, v52
	v_add_nc_u32_e32 v52, 0xfffffc10, v52
	v_or_b32_e32 v72, 0x1000, v6
	v_lshl_or_b32 v73, v49, 12, v6
	s_wait_alu 0xfffd
	v_cndmask_b32_e64 v6, 0, 1, vcc_lo
	v_cmp_ne_u32_e32 vcc_lo, 0, v10
	v_bfe_u32 v58, v24, 20, 11
	v_med3_i32 v38, v53, 0, 13
	v_sub_nc_u32_e32 v53, 0x3f1, v55
	v_add_nc_u32_e32 v55, 0xfffffc10, v55
	v_or_b32_e32 v75, 0x1000, v10
	v_lshl_or_b32 v76, v52, 12, v10
	s_wait_alu 0xfffd
	v_cndmask_b32_e64 v10, 0, 1, vcc_lo
	v_cmp_ne_u32_e32 vcc_lo, 0, v21
	v_bfe_u32 v61, v26, 20, 11
	;; [unrolled: 9-line block ×3, first 2 shown]
	v_med3_i32 v42, v59, 0, 13
	v_sub_nc_u32_e32 v59, 0x3f1, v61
	v_add_nc_u32_e32 v61, 0xfffffc10, v61
	v_lshrrev_b32_e32 v77, v38, v51
	v_or_b32_e32 v81, 0x1000, v23
	v_lshl_or_b32 v82, v58, 12, v23
	s_wait_alu 0xfffd
	v_cndmask_b32_e64 v23, 0, 1, vcc_lo
	v_cmp_ne_u32_e32 vcc_lo, 0, v25
	v_med3_i32 v44, v62, 0, 13
	v_sub_nc_u32_e32 v62, 0x3f1, v64
	v_add_nc_u32_e32 v64, 0xfffffc10, v64
	v_lshrrev_b32_e32 v74, v13, v65
	v_lshrrev_b32_e32 v80, v40, v54
	v_or_b32_e32 v84, 0x1000, v25
	v_lshl_or_b32 v85, v61, 12, v25
	s_wait_alu 0xfffd
	v_cndmask_b32_e64 v25, 0, 1, vcc_lo
	v_cmp_ne_u32_e32 vcc_lo, 0, v27
	v_lshlrev_b32_e32 v38, v38, v77
	v_lshrrev_b32_e32 v86, v44, v60
	v_or_b32_e32 v87, 0x1000, v27
	v_lshl_or_b32 v88, v64, 12, v27
	s_wait_alu 0xfffd
	v_cndmask_b32_e64 v27, 0, 1, vcc_lo
	v_lshlrev_b32_e32 v13, v13, v74
	v_cmp_ne_u32_e32 vcc_lo, v38, v51
	v_lshlrev_b32_e32 v40, v40, v80
	v_lshrrev_b32_e32 v89, v46, v63
	v_lshlrev_b32_e32 v44, v44, v86
	v_cmp_ne_u32_e64 s1, v13, v65
	s_wait_alu 0xfffd
	v_cndmask_b32_e64 v65, 0, 1, vcc_lo
	v_cmp_ne_u32_e32 vcc_lo, v40, v54
	v_med3_i32 v50, v50, 0, 13
	v_lshrrev_b32_e32 v90, v48, v72
	v_lshlrev_b32_e32 v46, v46, v89
	v_med3_i32 v53, v53, 0, 13
	s_wait_alu 0xfffd
	v_cndmask_b32_e64 v40, 0, 1, vcc_lo
	v_cmp_ne_u32_e32 vcc_lo, v44, v60
	v_lshrrev_b32_e32 v91, v50, v75
	v_lshlrev_b32_e32 v48, v48, v90
	v_med3_i32 v56, v56, 0, 13
	v_lshrrev_b32_e32 v83, v42, v57
	s_wait_alu 0xfffd
	v_cndmask_b32_e64 v44, 0, 1, vcc_lo
	v_cmp_ne_u32_e32 vcc_lo, v46, v63
	v_lshrrev_b32_e32 v38, v53, v78
	v_lshlrev_b32_e32 v50, v50, v91
	v_med3_i32 v59, v59, 0, 13
	v_lshlrev_b32_e32 v42, v42, v83
	s_wait_alu 0xfffd
	v_cndmask_b32_e64 v46, 0, 1, vcc_lo
	v_cmp_ne_u32_e32 vcc_lo, v48, v72
	v_lshrrev_b32_e32 v51, v56, v81
	v_lshlrev_b32_e32 v53, v53, v38
	v_med3_i32 v62, v62, 0, 13
	v_cmp_ne_u32_e64 s0, v42, v57
	s_wait_alu 0xfffd
	v_cndmask_b32_e64 v48, 0, 1, vcc_lo
	v_cmp_ne_u32_e32 vcc_lo, v50, v75
	v_lshrrev_b32_e32 v42, v59, v84
	v_lshlrev_b32_e32 v54, v56, v51
	v_lshrrev_b32_e32 v57, v62, v87
	s_wait_alu 0xf1ff
	v_cndmask_b32_e64 v13, 0, 1, s1
	s_wait_alu 0xfffd
	v_cndmask_b32_e64 v50, 0, 1, vcc_lo
	v_cmp_ne_u32_e32 vcc_lo, v53, v78
	v_lshlrev_b32_e32 v59, v59, v42
	v_lshlrev_b32_e32 v60, v62, v57
	v_or_b32_e32 v13, v74, v13
	v_or_b32_e32 v62, v77, v65
	s_wait_alu 0xfffd
	v_cndmask_b32_e64 v53, 0, 1, vcc_lo
	v_cmp_ne_u32_e32 vcc_lo, v54, v81
	v_cndmask_b32_e64 v56, 0, 1, s0
	v_or_b32_e32 v40, v80, v40
	v_or_b32_e32 v44, v86, v44
	;; [unrolled: 1-line block ×3, first 2 shown]
	s_wait_alu 0xfffd
	v_cndmask_b32_e64 v54, 0, 1, vcc_lo
	v_cmp_ne_u32_e32 vcc_lo, v59, v84
	v_or_b32_e32 v56, v83, v56
	v_or_b32_e32 v46, v89, v46
	;; [unrolled: 1-line block ×4, first 2 shown]
	s_wait_alu 0xfffd
	v_cndmask_b32_e64 v59, 0, 1, vcc_lo
	v_cmp_ne_u32_e32 vcc_lo, v60, v87
	v_or_b32_e32 v51, v51, v54
	v_lshl_or_b32 v12, v12, 9, 0x7c00
	v_lshl_or_b32 v8, v8, 9, 0x7c00
	v_or_b32_e32 v42, v42, v59
	s_wait_alu 0xfffd
	v_cndmask_b32_e64 v60, 0, 1, vcc_lo
	v_cmp_gt_i32_e32 vcc_lo, 1, v29
	v_lshl_or_b32 v15, v15, 9, 0x7c00
	v_lshl_or_b32 v17, v17, 9, 0x7c00
	;; [unrolled: 1-line block ×3, first 2 shown]
	v_or_b32_e32 v54, v57, v60
	s_wait_alu 0xfffd
	v_cndmask_b32_e32 v13, v66, v13, vcc_lo
	v_cmp_gt_i32_e32 vcc_lo, 1, v39
	v_lshl_or_b32 v4, v4, 9, 0x7c00
	v_lshl_or_b32 v6, v6, 9, 0x7c00
	;; [unrolled: 1-line block ×3, first 2 shown]
	v_lshrrev_b32_e32 v9, 16, v9
	s_wait_alu 0xfffd
	v_cndmask_b32_e32 v62, v67, v62, vcc_lo
	v_cmp_gt_i32_e32 vcc_lo, 1, v41
	v_lshl_or_b32 v21, v21, 9, 0x7c00
	v_lshrrev_b32_e32 v14, 16, v14
	v_lshl_or_b32 v23, v23, 9, 0x7c00
	s_wait_alu 0xfffd
	v_dual_cndmask_b32 v40, v68, v40 :: v_dual_and_b32 v57, 7, v62
	v_cmp_gt_i32_e32 vcc_lo, 1, v43
	v_lshrrev_b32_e32 v59, 2, v62
	v_lshrrev_b32_e32 v16, 16, v16
	s_delay_alu instid0(VALU_DEP_4)
	v_cmp_lt_i32_e64 s1, 5, v57
	v_cmp_eq_u32_e64 s2, 3, v57
	s_wait_alu 0xfffd
	v_cndmask_b32_e32 v53, v69, v56, vcc_lo
	v_cmp_gt_i32_e32 vcc_lo, 1, v45
	v_and_b32_e32 v56, 7, v13
	v_lshrrev_b32_e32 v13, 2, v13
	v_and_b32_e32 v60, 7, v40
	s_or_b32 s1, s2, s1
	s_wait_alu 0xfffd
	v_cndmask_b32_e32 v44, v70, v44, vcc_lo
	v_cmp_gt_i32_e32 vcc_lo, 1, v47
	v_cmp_eq_u32_e64 s0, 3, v56
	v_cmp_lt_i32_e64 s3, 5, v60
	v_cmp_eq_u32_e64 s4, 3, v60
	v_lshrrev_b32_e32 v40, 2, v40
	s_wait_alu 0xfffd
	v_cndmask_b32_e32 v46, v71, v46, vcc_lo
	v_cmp_gt_i32_e32 vcc_lo, 1, v49
	v_and_b32_e32 v62, 7, v53
	s_or_b32 s3, s4, s3
	v_lshrrev_b32_e32 v53, 2, v53
	s_wait_alu 0xfffe
	v_add_co_ci_u32_e64 v40, s3, 0, v40, s3
	s_wait_alu 0xfffd
	v_cndmask_b32_e32 v48, v73, v48, vcc_lo
	v_cmp_gt_i32_e32 vcc_lo, 1, v52
	v_cmp_lt_i32_e64 s5, 5, v62
	v_cmp_eq_u32_e64 s6, 3, v62
	v_and_b32_e32 v63, 7, v44
	v_lshrrev_b32_e32 v44, 2, v44
	s_wait_alu 0xfffd
	v_cndmask_b32_e32 v50, v76, v50, vcc_lo
	v_cmp_gt_i32_e32 vcc_lo, 1, v55
	s_or_b32 s5, s6, s5
	v_cmp_lt_i32_e64 s7, 5, v63
	s_wait_alu 0xfffe
	v_add_co_ci_u32_e64 v53, s5, 0, v53, s5
	s_wait_alu 0xfffd
	v_cndmask_b32_e32 v38, v79, v38, vcc_lo
	v_cmp_gt_i32_e32 vcc_lo, 1, v58
	v_cmp_eq_u32_e64 s8, 3, v63
	v_and_b32_e32 v65, 7, v46
	v_and_b32_e32 v66, 7, v48
	;; [unrolled: 1-line block ×3, first 2 shown]
	s_wait_alu 0xfffd
	v_cndmask_b32_e32 v51, v82, v51, vcc_lo
	v_cmp_gt_i32_e32 vcc_lo, 1, v61
	v_lshrrev_b32_e32 v38, 2, v38
	s_or_b32 s7, s8, s7
	v_cmp_eq_u32_e64 s2, 3, v57
	v_and_b32_e32 v60, 7, v51
	s_wait_alu 0xfffd
	v_cndmask_b32_e32 v42, v85, v42, vcc_lo
	v_cmp_gt_i32_e32 vcc_lo, 1, v64
	v_lshrrev_b32_e32 v51, 2, v51
	s_wait_alu 0xfffe
	v_add_co_ci_u32_e64 v44, s7, 0, v44, s7
	v_cmp_lt_i32_e64 s3, 5, v60
	s_wait_alu 0xfffd
	v_cndmask_b32_e32 v54, v88, v54, vcc_lo
	v_cmp_lt_i32_e32 vcc_lo, 5, v56
	v_and_b32_e32 v56, 7, v50
	v_lshrrev_b32_e32 v50, 2, v50
	v_cmp_eq_u32_e64 s4, 3, v60
	v_and_b32_e32 v62, 7, v42
	s_or_b32 vcc_lo, s0, vcc_lo
	v_cmp_eq_u32_e64 s0, 3, v56
	s_wait_alu 0xfffe
	v_add_co_ci_u32_e32 v13, vcc_lo, 0, v13, vcc_lo
	v_cmp_lt_i32_e32 vcc_lo, 5, v56
	v_add_co_ci_u32_e64 v56, s1, 0, v59, s1
	v_cmp_lt_i32_e64 s1, 5, v57
	v_cmp_lt_i32_e64 s5, 5, v62
	s_or_b32 vcc_lo, s0, vcc_lo
	v_cmp_eq_u32_e64 s6, 3, v62
	s_wait_alu 0xfffe
	v_add_co_ci_u32_e32 v50, vcc_lo, 0, v50, vcc_lo
	v_cmp_gt_i32_e32 vcc_lo, 31, v39
	v_lshrrev_b32_e32 v42, 2, v42
	v_and_b32_e32 v63, 7, v54
	v_cmp_lt_i32_e64 s9, 5, v65
	v_cmp_eq_u32_e64 s10, 3, v65
	s_wait_alu 0xfffd
	v_cndmask_b32_e32 v56, 0x7c00, v56, vcc_lo
	s_or_b32 vcc_lo, s2, s1
	v_cmp_lt_i32_e64 s7, 5, v63
	s_wait_alu 0xfffe
	v_add_co_ci_u32_e32 v38, vcc_lo, 0, v38, vcc_lo
	v_cmp_gt_i32_e32 vcc_lo, 31, v41
	v_cmp_eq_u32_e64 s8, 3, v63
	v_lshrrev_b32_e32 v54, 2, v54
	v_lshrrev_b32_e32 v46, 2, v46
	v_cmp_lt_i32_e64 s11, 5, v66
	s_wait_alu 0xfffd
	v_cndmask_b32_e32 v40, 0x7c00, v40, vcc_lo
	s_or_b32 vcc_lo, s4, s3
	v_cmp_eq_u32_e64 s12, 3, v66
	s_wait_alu 0xfffe
	v_add_co_ci_u32_e32 v51, vcc_lo, 0, v51, vcc_lo
	v_cmp_gt_i32_e32 vcc_lo, 31, v43
	s_or_b32 s9, s10, s9
	v_lshrrev_b32_e32 v48, 2, v48
	v_add_co_ci_u32_e64 v46, s9, 0, v46, s9
	s_wait_alu 0xfffd
	v_cndmask_b32_e32 v53, 0x7c00, v53, vcc_lo
	s_or_b32 vcc_lo, s6, s5
	s_or_b32 s9, s12, s11
	s_wait_alu 0xfffe
	v_add_co_ci_u32_e32 v42, vcc_lo, 0, v42, vcc_lo
	v_cmp_gt_i32_e32 vcc_lo, 31, v45
	v_add_co_ci_u32_e64 v48, s9, 0, v48, s9
	v_cmp_gt_i32_e64 s9, 31, v29
	v_lshl_or_b32 v25, v25, 9, 0x7c00
	s_wait_alu 0xfffd
	v_cndmask_b32_e32 v44, 0x7c00, v44, vcc_lo
	s_or_b32 vcc_lo, s8, s7
	v_lshrrev_b32_e32 v1, 16, v1
	s_wait_alu 0xfffe
	v_add_co_ci_u32_e32 v54, vcc_lo, 0, v54, vcc_lo
	v_cmp_gt_i32_e32 vcc_lo, 31, v47
	v_cndmask_b32_e64 v13, 0x7c00, v13, s9
	v_lshrrev_b32_e32 v5, 16, v5
	v_lshrrev_b32_e32 v7, 16, v7
	v_lshl_or_b32 v27, v27, 9, 0x7c00
	s_wait_alu 0xfffd
	v_cndmask_b32_e32 v46, 0x7c00, v46, vcc_lo
	v_cmp_gt_i32_e32 vcc_lo, 31, v49
	v_lshrrev_b32_e32 v11, 16, v11
	v_lshrrev_b32_e32 v22, 16, v22
	;; [unrolled: 1-line block ×4, first 2 shown]
	s_wait_alu 0xfffd
	v_cndmask_b32_e32 v48, 0x7c00, v48, vcc_lo
	v_cmp_eq_u32_e32 vcc_lo, 0x40f, v29
	v_lshrrev_b32_e32 v28, 16, v28
	v_lshrrev_b32_e32 v18, 16, v18
	s_wait_alu 0xfffd
	v_cndmask_b32_e32 v12, v13, v12, vcc_lo
	v_cmp_gt_i32_e32 vcc_lo, 31, v52
	s_delay_alu instid0(VALU_DEP_2)
	v_and_or_b32 v12, 0x8000, v14, v12
	s_wait_alu 0xfffd
	v_cndmask_b32_e32 v13, 0x7c00, v50, vcc_lo
	v_cmp_eq_u32_e32 vcc_lo, 0x40f, v39
	s_wait_alu 0xfffd
	v_cndmask_b32_e32 v8, v56, v8, vcc_lo
	v_cmp_gt_i32_e32 vcc_lo, 31, v55
	s_delay_alu instid0(VALU_DEP_2)
	v_and_or_b32 v8, 0x8000, v9, v8
	s_wait_alu 0xfffd
	v_cndmask_b32_e32 v29, 0x7c00, v38, vcc_lo
	v_cmp_eq_u32_e32 vcc_lo, 0x40f, v41
	s_wait_alu 0xfffd
	v_cndmask_b32_e32 v15, v40, v15, vcc_lo
	v_cmp_gt_i32_e32 vcc_lo, 31, v58
	s_wait_alu 0xfffd
	v_cndmask_b32_e32 v38, 0x7c00, v51, vcc_lo
	v_cmp_eq_u32_e32 vcc_lo, 0x40f, v43
	s_wait_alu 0xfffd
	v_cndmask_b32_e32 v17, v53, v17, vcc_lo
	v_cmp_gt_i32_e32 vcc_lo, 31, v61
	;; [unrolled: 6-line block ×3, first 2 shown]
	s_delay_alu instid0(VALU_DEP_2)
	v_and_or_b32 v0, 0x8000, v1, v0
	s_wait_alu 0xfffd
	v_cndmask_b32_e32 v40, 0x7c00, v54, vcc_lo
	v_cmp_eq_u32_e32 vcc_lo, 0x40f, v47
	s_wait_alu 0xfffd
	v_cndmask_b32_e32 v4, v46, v4, vcc_lo
	v_cmp_eq_u32_e32 vcc_lo, 0x40f, v49
	s_delay_alu instid0(VALU_DEP_2) | instskip(SKIP_3) | instid1(VALU_DEP_2)
	v_and_or_b32 v4, 0x8000, v5, v4
	s_wait_alu 0xfffd
	v_cndmask_b32_e32 v6, v48, v6, vcc_lo
	v_cmp_eq_u32_e32 vcc_lo, 0x40f, v52
	v_and_or_b32 v5, 0x8000, v7, v6
	s_wait_alu 0xfffd
	v_cndmask_b32_e32 v10, v13, v10, vcc_lo
	v_cmp_eq_u32_e32 vcc_lo, 0x40f, v55
	v_and_or_b32 v13, 0x8000, v16, v15
	v_and_or_b32 v15, 0x8000, v18, v17
	v_and_b32_e32 v5, 0xffff, v5
	v_and_or_b32 v6, 0x8000, v11, v10
	s_wait_alu 0xfffd
	v_cndmask_b32_e32 v9, v29, v21, vcc_lo
	v_cmp_eq_u32_e32 vcc_lo, 0x40f, v58
	v_lshl_or_b32 v5, v12, 16, v5
	v_and_b32_e32 v6, 0xffff, v6
	s_delay_alu instid0(VALU_DEP_4)
	v_and_or_b32 v7, 0x8000, v22, v9
	s_wait_alu 0xfffd
	v_cndmask_b32_e32 v14, v38, v23, vcc_lo
	v_cmp_eq_u32_e32 vcc_lo, 0x40f, v61
	v_lshl_or_b32 v6, v8, 16, v6
	v_and_b32_e32 v7, 0xffff, v7
	s_delay_alu instid0(VALU_DEP_4)
	v_and_or_b32 v9, 0x8000, v24, v14
	s_wait_alu 0xfffd
	v_cndmask_b32_e32 v16, v39, v25, vcc_lo
	v_cmp_eq_u32_e32 vcc_lo, 0x40f, v64
	v_lshl_or_b32 v7, v13, 16, v7
	v_and_b32_e32 v9, 0xffff, v9
	s_delay_alu instid0(VALU_DEP_4) | instskip(SKIP_2) | instid1(VALU_DEP_3)
	v_and_or_b32 v10, 0x8000, v26, v16
	s_wait_alu 0xfffd
	v_cndmask_b32_e32 v1, v40, v27, vcc_lo
	v_lshl_or_b32 v8, v15, 16, v9
	s_delay_alu instid0(VALU_DEP_3) | instskip(NEXT) | instid1(VALU_DEP_3)
	v_and_b32_e32 v10, 0xffff, v10
	v_and_or_b32 v1, 0x8000, v28, v1
	s_delay_alu instid0(VALU_DEP_2) | instskip(NEXT) | instid1(VALU_DEP_2)
	v_lshl_or_b32 v0, v0, 16, v10
	v_and_b32_e32 v1, 0xffff, v1
	s_delay_alu instid0(VALU_DEP_1)
	v_lshl_or_b32 v1, v4, 16, v1
	s_clause 0x4
	global_store_b32 v[2:3], v5, off
	global_store_b32 v[19:20], v6, off
	;; [unrolled: 1-line block ×6, first 2 shown]
.LBB0_2:
	s_nop 0
	s_sendmsg sendmsg(MSG_DEALLOC_VGPRS)
	s_endpgm
	.section	.rodata,"a",@progbits
	.p2align	6, 0x0
	.amdhsa_kernel bluestein_single_back_len1458_dim1_half_op_CI_CI
		.amdhsa_group_segment_fixed_size 5832
		.amdhsa_private_segment_fixed_size 0
		.amdhsa_kernarg_size 104
		.amdhsa_user_sgpr_count 2
		.amdhsa_user_sgpr_dispatch_ptr 0
		.amdhsa_user_sgpr_queue_ptr 0
		.amdhsa_user_sgpr_kernarg_segment_ptr 1
		.amdhsa_user_sgpr_dispatch_id 0
		.amdhsa_user_sgpr_private_segment_size 0
		.amdhsa_wavefront_size32 1
		.amdhsa_uses_dynamic_stack 0
		.amdhsa_enable_private_segment 0
		.amdhsa_system_sgpr_workgroup_id_x 1
		.amdhsa_system_sgpr_workgroup_id_y 0
		.amdhsa_system_sgpr_workgroup_id_z 0
		.amdhsa_system_sgpr_workgroup_info 0
		.amdhsa_system_vgpr_workitem_id 0
		.amdhsa_next_free_vgpr 92
		.amdhsa_next_free_sgpr 20
		.amdhsa_reserve_vcc 1
		.amdhsa_float_round_mode_32 0
		.amdhsa_float_round_mode_16_64 0
		.amdhsa_float_denorm_mode_32 3
		.amdhsa_float_denorm_mode_16_64 3
		.amdhsa_fp16_overflow 0
		.amdhsa_workgroup_processor_mode 1
		.amdhsa_memory_ordered 1
		.amdhsa_forward_progress 0
		.amdhsa_round_robin_scheduling 0
		.amdhsa_exception_fp_ieee_invalid_op 0
		.amdhsa_exception_fp_denorm_src 0
		.amdhsa_exception_fp_ieee_div_zero 0
		.amdhsa_exception_fp_ieee_overflow 0
		.amdhsa_exception_fp_ieee_underflow 0
		.amdhsa_exception_fp_ieee_inexact 0
		.amdhsa_exception_int_div_zero 0
	.end_amdhsa_kernel
	.text
.Lfunc_end0:
	.size	bluestein_single_back_len1458_dim1_half_op_CI_CI, .Lfunc_end0-bluestein_single_back_len1458_dim1_half_op_CI_CI
                                        ; -- End function
	.section	.AMDGPU.csdata,"",@progbits
; Kernel info:
; codeLenInByte = 11076
; NumSgprs: 22
; NumVgprs: 92
; ScratchSize: 0
; MemoryBound: 0
; FloatMode: 240
; IeeeMode: 1
; LDSByteSize: 5832 bytes/workgroup (compile time only)
; SGPRBlocks: 2
; VGPRBlocks: 11
; NumSGPRsForWavesPerEU: 22
; NumVGPRsForWavesPerEU: 92
; Occupancy: 16
; WaveLimiterHint : 1
; COMPUTE_PGM_RSRC2:SCRATCH_EN: 0
; COMPUTE_PGM_RSRC2:USER_SGPR: 2
; COMPUTE_PGM_RSRC2:TRAP_HANDLER: 0
; COMPUTE_PGM_RSRC2:TGID_X_EN: 1
; COMPUTE_PGM_RSRC2:TGID_Y_EN: 0
; COMPUTE_PGM_RSRC2:TGID_Z_EN: 0
; COMPUTE_PGM_RSRC2:TIDIG_COMP_CNT: 0
	.text
	.p2alignl 7, 3214868480
	.fill 96, 4, 3214868480
	.type	__hip_cuid_fe740855182fed20,@object ; @__hip_cuid_fe740855182fed20
	.section	.bss,"aw",@nobits
	.globl	__hip_cuid_fe740855182fed20
__hip_cuid_fe740855182fed20:
	.byte	0                               ; 0x0
	.size	__hip_cuid_fe740855182fed20, 1

	.ident	"AMD clang version 19.0.0git (https://github.com/RadeonOpenCompute/llvm-project roc-6.4.0 25133 c7fe45cf4b819c5991fe208aaa96edf142730f1d)"
	.section	".note.GNU-stack","",@progbits
	.addrsig
	.addrsig_sym __hip_cuid_fe740855182fed20
	.amdgpu_metadata
---
amdhsa.kernels:
  - .args:
      - .actual_access:  read_only
        .address_space:  global
        .offset:         0
        .size:           8
        .value_kind:     global_buffer
      - .actual_access:  read_only
        .address_space:  global
        .offset:         8
        .size:           8
        .value_kind:     global_buffer
      - .actual_access:  read_only
        .address_space:  global
        .offset:         16
        .size:           8
        .value_kind:     global_buffer
      - .actual_access:  read_only
        .address_space:  global
        .offset:         24
        .size:           8
        .value_kind:     global_buffer
      - .actual_access:  read_only
        .address_space:  global
        .offset:         32
        .size:           8
        .value_kind:     global_buffer
      - .offset:         40
        .size:           8
        .value_kind:     by_value
      - .address_space:  global
        .offset:         48
        .size:           8
        .value_kind:     global_buffer
      - .address_space:  global
        .offset:         56
        .size:           8
        .value_kind:     global_buffer
      - .address_space:  global
        .offset:         64
        .size:           8
        .value_kind:     global_buffer
      - .address_space:  global
        .offset:         72
        .size:           8
        .value_kind:     global_buffer
      - .offset:         80
        .size:           4
        .value_kind:     by_value
      - .address_space:  global
        .offset:         88
        .size:           8
        .value_kind:     global_buffer
      - .address_space:  global
        .offset:         96
        .size:           8
        .value_kind:     global_buffer
    .group_segment_fixed_size: 5832
    .kernarg_segment_align: 8
    .kernarg_segment_size: 104
    .language:       OpenCL C
    .language_version:
      - 2
      - 0
    .max_flat_workgroup_size: 243
    .name:           bluestein_single_back_len1458_dim1_half_op_CI_CI
    .private_segment_fixed_size: 0
    .sgpr_count:     22
    .sgpr_spill_count: 0
    .symbol:         bluestein_single_back_len1458_dim1_half_op_CI_CI.kd
    .uniform_work_group_size: 1
    .uses_dynamic_stack: false
    .vgpr_count:     92
    .vgpr_spill_count: 0
    .wavefront_size: 32
    .workgroup_processor_mode: 1
amdhsa.target:   amdgcn-amd-amdhsa--gfx1201
amdhsa.version:
  - 1
  - 2
...

	.end_amdgpu_metadata
